;; amdgpu-corpus repo=ROCm/rocFFT kind=compiled arch=gfx906 opt=O3
	.text
	.amdgcn_target "amdgcn-amd-amdhsa--gfx906"
	.amdhsa_code_object_version 6
	.protected	bluestein_single_fwd_len1911_dim1_sp_op_CI_CI ; -- Begin function bluestein_single_fwd_len1911_dim1_sp_op_CI_CI
	.globl	bluestein_single_fwd_len1911_dim1_sp_op_CI_CI
	.p2align	8
	.type	bluestein_single_fwd_len1911_dim1_sp_op_CI_CI,@function
bluestein_single_fwd_len1911_dim1_sp_op_CI_CI: ; @bluestein_single_fwd_len1911_dim1_sp_op_CI_CI
; %bb.0:
	s_load_dwordx4 s[8:11], s[4:5], 0x28
	v_mul_u32_u24_e32 v1, 0x2d1, v0
	v_add_u32_sdwa v166, s6, v1 dst_sel:DWORD dst_unused:UNUSED_PAD src0_sel:DWORD src1_sel:WORD_1
	v_mov_b32_e32 v167, 0
	s_waitcnt lgkmcnt(0)
	v_cmp_gt_u64_e32 vcc, s[8:9], v[166:167]
	s_and_saveexec_b64 s[0:1], vcc
	s_cbranch_execz .LBB0_15
; %bb.1:
	s_load_dwordx4 s[0:3], s[4:5], 0x18
	s_waitcnt lgkmcnt(0)
	s_load_dwordx4 s[12:15], s[0:1], 0x0
	s_movk_i32 s0, 0x5b
	v_mul_lo_u16_sdwa v1, v1, s0 dst_sel:DWORD dst_unused:UNUSED_PAD src0_sel:WORD_1 src1_sel:DWORD
	v_sub_u16_e32 v172, v0, v1
	v_lshlrev_b32_e32 v171, 3, v172
	s_waitcnt lgkmcnt(0)
	v_mad_u64_u32 v[0:1], s[0:1], s14, v166, 0
	v_mad_u64_u32 v[2:3], s[0:1], s12, v172, 0
	;; [unrolled: 1-line block ×3, first 2 shown]
	s_load_dwordx2 s[14:15], s[4:5], 0x0
	v_mad_u64_u32 v[5:6], s[0:1], s13, v172, v[3:4]
	v_mov_b32_e32 v1, v4
	v_lshlrev_b64 v[0:1], 3, v[0:1]
	v_mov_b32_e32 v6, s11
	v_mov_b32_e32 v3, v5
	v_add_co_u32_e32 v4, vcc, s10, v0
	v_addc_co_u32_e32 v5, vcc, v6, v1, vcc
	v_lshlrev_b64 v[0:1], 3, v[2:3]
	s_waitcnt lgkmcnt(0)
	v_mov_b32_e32 v2, s15
	v_add_co_u32_e32 v0, vcc, v4, v0
	v_addc_co_u32_e32 v1, vcc, v5, v1, vcc
	v_add_co_u32_e32 v138, vcc, s14, v171
	v_addc_co_u32_e64 v139, s[0:1], 0, v2, vcc
	s_mul_i32 s0, s13, 0x93
	s_mul_hi_u32 s1, s12, 0x93
	s_add_i32 s1, s1, s0
	s_mul_i32 s0, s12, 0x93
	s_lshl_b64 s[16:17], s[0:1], 3
	v_mov_b32_e32 v32, s17
	v_add_co_u32_e64 v2, s[0:1], s16, v0
	v_addc_co_u32_e64 v3, s[0:1], v1, v32, s[0:1]
	v_add_co_u32_e64 v4, s[0:1], s16, v2
	v_addc_co_u32_e64 v5, s[0:1], v3, v32, s[0:1]
	;; [unrolled: 2-line block ×3, first 2 shown]
	global_load_dwordx2 v[8:9], v[0:1], off
	global_load_dwordx2 v[10:11], v[2:3], off
	;; [unrolled: 1-line block ×4, first 2 shown]
	global_load_dwordx2 v[164:165], v171, s[14:15]
	global_load_dwordx2 v[162:163], v171, s[14:15] offset:1176
	global_load_dwordx2 v[158:159], v171, s[14:15] offset:2352
	;; [unrolled: 1-line block ×3, first 2 shown]
	v_add_co_u32_e64 v2, s[0:1], s16, v6
	v_addc_co_u32_e64 v3, s[0:1], v7, v32, s[0:1]
	s_movk_i32 s0, 0x1000
	v_add_co_u32_e64 v0, s[0:1], s0, v138
	v_addc_co_u32_e64 v1, s[0:1], 0, v139, s[0:1]
	global_load_dwordx2 v[16:17], v[2:3], off
	v_add_co_u32_e64 v2, s[0:1], s16, v2
	v_addc_co_u32_e64 v3, s[0:1], v3, v32, s[0:1]
	global_load_dwordx2 v[18:19], v[2:3], off
	v_add_co_u32_e64 v2, s[0:1], s16, v2
	v_addc_co_u32_e64 v3, s[0:1], v3, v32, s[0:1]
	v_add_co_u32_e64 v4, s[0:1], s16, v2
	v_addc_co_u32_e64 v5, s[0:1], v3, v32, s[0:1]
	s_movk_i32 s0, 0x2000
	global_load_dwordx2 v[20:21], v[2:3], off
	global_load_dwordx2 v[160:161], v[0:1], off offset:608
	global_load_dwordx2 v[156:157], v[0:1], off offset:1784
	;; [unrolled: 1-line block ×3, first 2 shown]
	v_add_co_u32_e64 v2, s[0:1], s0, v138
	v_addc_co_u32_e64 v3, s[0:1], 0, v139, s[0:1]
	global_load_dwordx2 v[22:23], v[4:5], off
	v_add_co_u32_e64 v4, s[0:1], s16, v4
	v_addc_co_u32_e64 v5, s[0:1], v5, v32, s[0:1]
	global_load_dwordx2 v[24:25], v[4:5], off
	;; [unrolled: 3-line block ×3, first 2 shown]
	v_add_co_u32_e64 v4, s[0:1], s16, v4
	global_load_dwordx2 v[148:149], v[2:3], off offset:40
	v_addc_co_u32_e64 v5, s[0:1], v5, v32, s[0:1]
	v_add_co_u32_e64 v6, s[0:1], s16, v4
	v_addc_co_u32_e64 v7, s[0:1], v5, v32, s[0:1]
	s_movk_i32 s0, 0x3000
	global_load_dwordx2 v[152:153], v[2:3], off offset:1216
	global_load_dwordx2 v[28:29], v[4:5], off
	global_load_dwordx2 v[146:147], v[2:3], off offset:2392
	global_load_dwordx2 v[144:145], v[2:3], off offset:3568
	v_add_co_u32_e64 v4, s[0:1], s0, v138
	v_addc_co_u32_e64 v5, s[0:1], 0, v139, s[0:1]
	global_load_dwordx2 v[30:31], v[6:7], off
	global_load_dwordx2 v[142:143], v[4:5], off offset:648
	v_add_co_u32_e64 v6, s[0:1], s16, v6
	v_addc_co_u32_e64 v7, s[0:1], v7, v32, s[0:1]
	global_load_dwordx2 v[32:33], v[6:7], off
	global_load_dwordx2 v[140:141], v[4:5], off offset:1824
	s_load_dwordx2 s[6:7], s[4:5], 0x38
	s_load_dwordx4 s[8:11], s[2:3], 0x0
	v_cmp_gt_u16_e64 s[0:1], 56, v172
	s_waitcnt vmcnt(21)
	v_mul_f32_e32 v34, v9, v165
	v_fmac_f32_e32 v34, v8, v164
	v_mul_f32_e32 v8, v8, v165
	v_fma_f32 v35, v9, v164, -v8
	s_waitcnt vmcnt(20)
	v_mul_f32_e32 v8, v11, v163
	v_mul_f32_e32 v9, v10, v163
	v_fmac_f32_e32 v8, v10, v162
	v_fma_f32 v9, v11, v162, -v9
	ds_write2_b64 v171, v[34:35], v[8:9] offset1:147
	s_waitcnt vmcnt(19)
	v_mul_f32_e32 v8, v12, v159
	v_mul_f32_e32 v9, v13, v159
	v_fma_f32 v10, v13, v158, -v8
	s_waitcnt vmcnt(18)
	v_mul_f32_e32 v11, v15, v155
	v_mul_f32_e32 v8, v14, v155
	v_fmac_f32_e32 v9, v12, v158
	v_fmac_f32_e32 v11, v14, v154
	v_fma_f32 v12, v15, v154, -v8
	v_add_u32_e32 v8, 0x800, v171
	ds_write2_b64 v8, v[9:10], v[11:12] offset0:38 offset1:185
	s_waitcnt vmcnt(14)
	v_mul_f32_e32 v9, v16, v161
	v_mul_f32_e32 v10, v17, v161
	v_fma_f32 v11, v17, v160, -v9
	s_waitcnt vmcnt(13)
	v_mul_f32_e32 v12, v19, v157
	v_mul_f32_e32 v9, v18, v157
	v_fmac_f32_e32 v10, v16, v160
	v_fmac_f32_e32 v12, v18, v156
	v_fma_f32 v13, v19, v156, -v9
	v_add_u32_e32 v9, 0x1000, v171
	ds_write2_b64 v9, v[10:11], v[12:13] offset0:76 offset1:223
	s_waitcnt vmcnt(12)
	v_mul_f32_e32 v10, v20, v151
	v_mul_f32_e32 v11, v21, v151
	v_fma_f32 v12, v21, v150, -v10
	v_fmac_f32_e32 v11, v20, v150
	s_waitcnt vmcnt(8)
	v_mul_f32_e32 v13, v23, v149
	v_mul_f32_e32 v10, v22, v149
	v_fmac_f32_e32 v13, v22, v148
	v_fma_f32 v14, v23, v148, -v10
	v_add_u32_e32 v10, 0x1a00, v171
	ds_write2_b64 v10, v[11:12], v[13:14] offset0:50 offset1:197
	s_waitcnt vmcnt(7)
	v_mul_f32_e32 v11, v24, v153
	v_mul_f32_e32 v12, v25, v153
	v_fma_f32 v13, v25, v152, -v11
	s_waitcnt vmcnt(5)
	v_mul_f32_e32 v14, v27, v147
	v_mul_f32_e32 v11, v26, v147
	v_fmac_f32_e32 v12, v24, v152
	v_fmac_f32_e32 v14, v26, v146
	v_fma_f32 v15, v27, v146, -v11
	v_add_u32_e32 v11, 0x2400, v171
	ds_write2_b64 v11, v[12:13], v[14:15] offset0:24 offset1:171
	s_waitcnt vmcnt(4)
	v_mul_f32_e32 v12, v28, v145
	v_mul_f32_e32 v13, v29, v145
	v_fma_f32 v14, v29, v144, -v12
	s_waitcnt vmcnt(2)
	v_mul_f32_e32 v15, v31, v143
	v_mul_f32_e32 v12, v30, v143
	v_fmac_f32_e32 v13, v28, v144
	v_fmac_f32_e32 v15, v30, v142
	v_fma_f32 v16, v31, v142, -v12
	v_add_u32_e32 v12, 0x2c00, v171
	ds_write2_b64 v12, v[13:14], v[15:16] offset0:62 offset1:209
	s_waitcnt vmcnt(0)
	v_mul_f32_e32 v13, v33, v141
	v_mul_f32_e32 v14, v32, v141
	v_fmac_f32_e32 v13, v32, v140
	v_fma_f32 v14, v33, v140, -v14
	ds_write_b64 v171, v[13:14] offset:14112
	s_and_saveexec_b64 s[18:19], s[0:1]
	s_cbranch_execz .LBB0_3
; %bb.2:
	v_mov_b32_e32 v13, 0xffffcbb8
	v_mad_u64_u32 v[6:7], s[2:3], s12, v13, v[6:7]
	s_mul_i32 s2, s13, 0xffffcbb8
	s_sub_i32 s2, s2, s12
	v_add_u32_e32 v7, s2, v7
	global_load_dwordx2 v[13:14], v[6:7], off
	global_load_dwordx2 v[15:16], v[138:139], off offset:728
	v_mov_b32_e32 v57, s17
	v_add_co_u32_e64 v6, s[2:3], s16, v6
	v_addc_co_u32_e64 v7, s[2:3], v7, v57, s[2:3]
	global_load_dwordx2 v[17:18], v[6:7], off
	v_add_co_u32_e64 v6, s[2:3], s16, v6
	v_addc_co_u32_e64 v7, s[2:3], v7, v57, s[2:3]
	global_load_dwordx2 v[19:20], v[6:7], off
	;; [unrolled: 3-line block ×3, first 2 shown]
	global_load_dwordx2 v[23:24], v[138:139], off offset:1904
	global_load_dwordx2 v[25:26], v[138:139], off offset:3080
	;; [unrolled: 1-line block ×3, first 2 shown]
	v_add_co_u32_e64 v6, s[2:3], s16, v6
	v_addc_co_u32_e64 v7, s[2:3], v7, v57, s[2:3]
	global_load_dwordx2 v[29:30], v[6:7], off
	v_add_co_u32_e64 v6, s[2:3], s16, v6
	v_addc_co_u32_e64 v7, s[2:3], v7, v57, s[2:3]
	global_load_dwordx2 v[31:32], v[6:7], off
	global_load_dwordx2 v[33:34], v[0:1], off offset:1336
	global_load_dwordx2 v[35:36], v[0:1], off offset:2512
	v_add_co_u32_e64 v6, s[2:3], s16, v6
	v_addc_co_u32_e64 v7, s[2:3], v7, v57, s[2:3]
	global_load_dwordx2 v[37:38], v[6:7], off
	v_add_co_u32_e64 v6, s[2:3], s16, v6
	v_addc_co_u32_e64 v7, s[2:3], v7, v57, s[2:3]
	global_load_dwordx2 v[39:40], v[6:7], off
	global_load_dwordx2 v[41:42], v[0:1], off offset:3688
	global_load_dwordx2 v[43:44], v[2:3], off offset:768
	v_add_co_u32_e64 v0, s[2:3], s16, v6
	v_addc_co_u32_e64 v1, s[2:3], v7, v57, s[2:3]
	global_load_dwordx2 v[6:7], v[0:1], off
	v_add_co_u32_e64 v0, s[2:3], s16, v0
	v_addc_co_u32_e64 v1, s[2:3], v1, v57, s[2:3]
	global_load_dwordx2 v[45:46], v[2:3], off offset:1944
	global_load_dwordx2 v[47:48], v[0:1], off
	global_load_dwordx2 v[49:50], v[2:3], off offset:3120
	v_add_co_u32_e64 v0, s[2:3], s16, v0
	v_addc_co_u32_e64 v1, s[2:3], v1, v57, s[2:3]
	global_load_dwordx2 v[2:3], v[0:1], off
	global_load_dwordx2 v[51:52], v[4:5], off offset:200
	v_add_co_u32_e64 v0, s[2:3], s16, v0
	v_addc_co_u32_e64 v1, s[2:3], v1, v57, s[2:3]
	;; [unrolled: 4-line block ×3, first 2 shown]
	global_load_dwordx2 v[57:58], v[4:5], off offset:2552
	global_load_dwordx2 v[59:60], v[0:1], off
	s_waitcnt vmcnt(24)
	v_mul_f32_e32 v0, v14, v16
	v_mul_f32_e32 v1, v13, v16
	v_fmac_f32_e32 v0, v13, v15
	v_fma_f32 v1, v14, v15, -v1
	v_add_u32_e32 v13, 0xc00, v171
	s_waitcnt vmcnt(20)
	v_mul_f32_e32 v4, v18, v24
	v_mul_f32_e32 v5, v17, v24
	v_fmac_f32_e32 v4, v17, v23
	v_fma_f32 v5, v18, v23, -v5
	ds_write2_b64 v171, v[0:1], v[4:5] offset0:91 offset1:238
	s_waitcnt vmcnt(19)
	v_mul_f32_e32 v0, v20, v26
	v_mul_f32_e32 v1, v19, v26
	s_waitcnt vmcnt(18)
	v_mul_f32_e32 v4, v22, v28
	v_mul_f32_e32 v5, v21, v28
	v_fmac_f32_e32 v0, v19, v25
	v_fma_f32 v1, v20, v25, -v1
	v_fmac_f32_e32 v4, v21, v27
	v_fma_f32 v5, v22, v27, -v5
	ds_write2_b64 v13, v[0:1], v[4:5] offset0:1 offset1:148
	s_waitcnt vmcnt(15)
	v_mul_f32_e32 v0, v30, v34
	v_mul_f32_e32 v1, v29, v34
	s_waitcnt vmcnt(14)
	v_mul_f32_e32 v4, v32, v36
	v_mul_f32_e32 v5, v31, v36
	v_fmac_f32_e32 v0, v29, v33
	v_fma_f32 v1, v30, v33, -v1
	v_fmac_f32_e32 v4, v31, v35
	v_fma_f32 v5, v32, v35, -v5
	v_add_u32_e32 v13, 0x1400, v171
	ds_write2_b64 v13, v[0:1], v[4:5] offset0:39 offset1:186
	s_waitcnt vmcnt(11)
	v_mul_f32_e32 v0, v38, v42
	v_mul_f32_e32 v1, v37, v42
	s_waitcnt vmcnt(10)
	v_mul_f32_e32 v4, v40, v44
	v_mul_f32_e32 v5, v39, v44
	v_fmac_f32_e32 v0, v37, v41
	v_fma_f32 v1, v38, v41, -v1
	v_fmac_f32_e32 v4, v39, v43
	v_fma_f32 v5, v40, v43, -v5
	v_add_u32_e32 v13, 0x1c00, v171
	;; [unrolled: 12-line block ×3, first 2 shown]
	ds_write2_b64 v6, v[0:1], v[4:5] offset0:51 offset1:198
	s_waitcnt vmcnt(4)
	v_mul_f32_e32 v0, v3, v52
	v_mul_f32_e32 v1, v2, v52
	v_fmac_f32_e32 v0, v2, v51
	v_fma_f32 v1, v3, v51, -v1
	s_waitcnt vmcnt(2)
	v_mul_f32_e32 v2, v54, v56
	v_mul_f32_e32 v3, v53, v56
	v_fmac_f32_e32 v2, v53, v55
	v_fma_f32 v3, v54, v55, -v3
	v_add_u32_e32 v4, 0x3000, v171
	ds_write2_b64 v4, v[0:1], v[2:3] offset0:25 offset1:172
	s_waitcnt vmcnt(0)
	v_mul_f32_e32 v0, v60, v58
	v_mul_f32_e32 v1, v59, v58
	v_fmac_f32_e32 v0, v59, v57
	v_fma_f32 v1, v60, v57, -v1
	ds_write_b64 v171, v[0:1] offset:14840
.LBB0_3:
	s_or_b64 exec, exec, s[18:19]
	s_waitcnt lgkmcnt(0)
	s_barrier
	ds_read2_b64 v[44:47], v171 offset1:147
	ds_read2_b64 v[36:39], v8 offset0:38 offset1:185
	ds_read2_b64 v[4:7], v9 offset0:76 offset1:223
	;; [unrolled: 1-line block ×5, first 2 shown]
	ds_read_b64 v[52:53], v171 offset:14112
	s_load_dwordx2 s[4:5], s[4:5], 0x8
	v_mov_b32_e32 v8, 0
	v_mov_b32_e32 v9, 0
                                        ; implicit-def: $vgpr14
                                        ; implicit-def: $vgpr24
                                        ; implicit-def: $vgpr28
                                        ; implicit-def: $vgpr48
                                        ; implicit-def: $vgpr22
                                        ; implicit-def: $vgpr18
	s_and_saveexec_b64 s[2:3], s[0:1]
	s_cbranch_execz .LBB0_5
; %bb.4:
	v_add_u32_e32 v12, 0xc00, v171
	ds_read2_b64 v[16:19], v12 offset0:1 offset1:148
	v_add_u32_e32 v12, 0x1400, v171
	ds_read2_b64 v[20:23], v12 offset0:39 offset1:186
	v_add_u32_e32 v12, 0x1c00, v171
	v_add_u32_e32 v24, 0x2600, v171
	;; [unrolled: 1-line block ×3, first 2 shown]
	ds_read2_b64 v[8:11], v171 offset0:91 offset1:238
	ds_read2_b64 v[12:15], v12 offset0:77 offset1:224
	;; [unrolled: 1-line block ×4, first 2 shown]
	ds_read_b64 v[48:49], v171 offset:14840
.LBB0_5:
	s_or_b64 exec, exec, s[2:3]
	s_waitcnt lgkmcnt(0)
	v_add_f32_e32 v50, v44, v46
	v_add_f32_e32 v51, v45, v47
	;; [unrolled: 1-line block ×23, first 2 shown]
	v_sub_f32_e32 v46, v46, v52
	v_sub_f32_e32 v47, v47, v53
	v_add_f32_e32 v51, v51, v43
	v_add_f32_e32 v50, v50, v52
	v_mul_f32_e32 v52, 0xbeedf032, v47
	s_mov_b32 s12, 0x3f62ad3f
	v_mul_f32_e32 v56, 0xbeedf032, v46
	v_mul_f32_e32 v58, 0xbf52af12, v47
	s_mov_b32 s13, 0x3f116cb1
	v_mul_f32_e32 v60, 0xbf52af12, v46
	;; [unrolled: 3-line block ×6, first 2 shown]
	v_add_f32_e32 v51, v51, v53
	v_fma_f32 v53, v54, s12, -v52
	v_mov_b32_e32 v57, v56
	v_fmac_f32_e32 v52, 0x3f62ad3f, v54
	v_fma_f32 v59, v54, s13, -v58
	v_mov_b32_e32 v61, v60
	v_fmac_f32_e32 v58, 0x3f116cb1, v54
	;; [unrolled: 3-line block ×6, first 2 shown]
	v_add_f32_e32 v53, v44, v53
	v_fmac_f32_e32 v57, 0x3f62ad3f, v55
	v_add_f32_e32 v52, v44, v52
	v_fma_f32 v56, v55, s12, -v56
	v_add_f32_e32 v59, v44, v59
	v_fmac_f32_e32 v61, 0x3f116cb1, v55
	v_add_f32_e32 v58, v44, v58
	v_fma_f32 v60, v55, s13, -v60
	;; [unrolled: 4-line block ×6, first 2 shown]
	v_add_f32_e32 v47, v43, v37
	v_sub_f32_e32 v37, v37, v43
	v_add_f32_e32 v57, v45, v57
	v_add_f32_e32 v56, v45, v56
	;; [unrolled: 1-line block ×13, first 2 shown]
	v_sub_f32_e32 v36, v36, v42
	v_mul_f32_e32 v42, 0xbf52af12, v37
	v_fma_f32 v43, v46, s13, -v42
	v_add_f32_e32 v43, v43, v53
	v_mul_f32_e32 v53, 0xbf52af12, v36
	v_fmac_f32_e32 v42, 0x3f116cb1, v46
	v_mov_b32_e32 v54, v53
	v_add_f32_e32 v42, v42, v52
	v_fma_f32 v52, v47, s13, -v53
	v_mul_f32_e32 v53, 0xbf6f5d39, v37
	v_fmac_f32_e32 v54, 0x3f116cb1, v47
	v_add_f32_e32 v52, v52, v56
	v_fma_f32 v55, v46, s16, -v53
	v_mul_f32_e32 v56, 0xbf6f5d39, v36
	v_fmac_f32_e32 v53, 0xbeb58ec6, v46
	v_add_f32_e32 v54, v54, v57
	v_mov_b32_e32 v57, v56
	v_add_f32_e32 v53, v53, v58
	v_fma_f32 v56, v47, s16, -v56
	v_mul_f32_e32 v58, 0xbe750f2a, v37
	v_add_f32_e32 v55, v55, v59
	v_fmac_f32_e32 v57, 0xbeb58ec6, v47
	v_add_f32_e32 v56, v56, v60
	v_fma_f32 v59, v46, s18, -v58
	v_mul_f32_e32 v60, 0xbe750f2a, v36
	v_fmac_f32_e32 v58, 0xbf788fa5, v46
	v_add_f32_e32 v57, v57, v61
	v_mov_b32_e32 v61, v60
	v_add_f32_e32 v58, v58, v62
	v_fma_f32 v60, v47, s18, -v60
	v_mul_f32_e32 v62, 0x3f29c268, v37
	v_add_f32_e32 v59, v59, v63
	;; [unrolled: 11-line block ×3, first 2 shown]
	v_add_f32_e32 v64, v64, v68
	v_fma_f32 v67, v46, s14, -v66
	v_mul_f32_e32 v68, 0x3f7e222b, v36
	v_mul_f32_e32 v36, 0x3eedf032, v36
	v_add_f32_e32 v67, v67, v71
	v_fmac_f32_e32 v66, 0x3df6dbef, v46
	v_mul_f32_e32 v37, 0x3eedf032, v37
	v_mov_b32_e32 v71, v36
	v_fma_f32 v36, v47, s12, -v36
	v_add_f32_e32 v66, v66, v70
	v_fma_f32 v70, v46, s12, -v37
	v_fmac_f32_e32 v37, 0x3f62ad3f, v46
	v_add_f32_e32 v36, v36, v45
	v_add_f32_e32 v45, v41, v39
	v_sub_f32_e32 v39, v39, v41
	v_add_f32_e32 v37, v37, v44
	v_add_f32_e32 v44, v40, v38
	v_sub_f32_e32 v38, v38, v40
	v_mul_f32_e32 v40, 0xbf7e222b, v39
	v_fma_f32 v41, v44, s14, -v40
	v_fmac_f32_e32 v65, 0xbf3f9e67, v47
	v_add_f32_e32 v41, v41, v43
	v_mul_f32_e32 v43, 0xbf7e222b, v38
	v_fmac_f32_e32 v40, 0x3df6dbef, v44
	v_add_f32_e32 v65, v65, v69
	v_mov_b32_e32 v69, v68
	v_mov_b32_e32 v46, v43
	v_add_f32_e32 v40, v40, v42
	v_fma_f32 v42, v45, s14, -v43
	v_mul_f32_e32 v43, 0xbe750f2a, v39
	v_fmac_f32_e32 v69, 0x3df6dbef, v47
	v_fma_f32 v68, v47, s14, -v68
	v_fmac_f32_e32 v71, 0x3f62ad3f, v47
	v_fma_f32 v47, v44, s18, -v43
	v_fmac_f32_e32 v43, 0xbf788fa5, v44
	v_fmac_f32_e32 v46, 0x3df6dbef, v45
	v_add_f32_e32 v42, v42, v52
	v_mul_f32_e32 v52, 0xbe750f2a, v38
	v_add_f32_e32 v43, v43, v53
	v_mul_f32_e32 v53, 0x3f6f5d39, v39
	v_add_f32_e32 v46, v46, v54
	v_add_f32_e32 v47, v47, v55
	v_mov_b32_e32 v54, v52
	v_fma_f32 v52, v45, s18, -v52
	v_fma_f32 v55, v44, s16, -v53
	v_fmac_f32_e32 v53, 0xbeb58ec6, v44
	v_fmac_f32_e32 v54, 0xbf788fa5, v45
	v_add_f32_e32 v52, v52, v56
	v_mul_f32_e32 v56, 0x3f6f5d39, v38
	v_add_f32_e32 v53, v53, v58
	v_mul_f32_e32 v58, 0x3eedf032, v39
	v_add_f32_e32 v54, v54, v57
	v_add_f32_e32 v55, v55, v59
	v_mov_b32_e32 v57, v56
	v_fma_f32 v56, v45, s16, -v56
	;; [unrolled: 11-line block ×3, first 2 shown]
	v_fma_f32 v63, v44, s13, -v62
	v_fmac_f32_e32 v62, 0x3f116cb1, v44
	v_mul_f32_e32 v39, 0xbf29c268, v39
	v_add_f32_e32 v60, v60, v64
	v_mul_f32_e32 v64, 0xbf52af12, v38
	v_add_f32_e32 v62, v62, v66
	v_fma_f32 v66, v44, s17, -v39
	v_mul_f32_e32 v38, 0xbf29c268, v38
	v_fmac_f32_e32 v39, 0xbf3f9e67, v44
	v_add_f32_e32 v63, v63, v67
	v_mov_b32_e32 v67, v38
	v_add_f32_e32 v37, v39, v37
	v_fma_f32 v38, v45, s17, -v38
	v_add_f32_e32 v39, v35, v5
	v_sub_f32_e32 v5, v5, v35
	v_add_f32_e32 v36, v38, v36
	v_add_f32_e32 v38, v34, v4
	v_sub_f32_e32 v4, v4, v34
	v_mul_f32_e32 v34, 0xbf6f5d39, v5
	v_fma_f32 v35, v38, s16, -v34
	v_fmac_f32_e32 v61, 0x3f62ad3f, v45
	v_add_f32_e32 v35, v35, v41
	v_mul_f32_e32 v41, 0xbf6f5d39, v4
	v_fmac_f32_e32 v34, 0xbeb58ec6, v38
	v_add_f32_e32 v61, v61, v65
	v_mov_b32_e32 v65, v64
	v_mov_b32_e32 v44, v41
	v_add_f32_e32 v34, v34, v40
	v_fma_f32 v40, v39, s16, -v41
	v_mul_f32_e32 v41, 0x3f29c268, v5
	v_fmac_f32_e32 v65, 0x3f116cb1, v45
	v_fma_f32 v64, v45, s13, -v64
	v_fmac_f32_e32 v67, 0xbf3f9e67, v45
	v_fmac_f32_e32 v44, 0xbeb58ec6, v39
	v_add_f32_e32 v40, v40, v42
	v_fma_f32 v42, v38, s17, -v41
	v_mul_f32_e32 v45, 0x3f29c268, v4
	v_fmac_f32_e32 v41, 0xbf3f9e67, v38
	v_add_f32_e32 v44, v44, v46
	v_mov_b32_e32 v46, v45
	v_add_f32_e32 v41, v41, v43
	v_fma_f32 v43, v39, s17, -v45
	v_mul_f32_e32 v45, 0x3eedf032, v5
	v_add_f32_e32 v42, v42, v47
	v_fma_f32 v47, v38, s12, -v45
	v_fmac_f32_e32 v45, 0x3f62ad3f, v38
	v_fmac_f32_e32 v46, 0xbf3f9e67, v39
	v_add_f32_e32 v43, v43, v52
	v_mul_f32_e32 v52, 0x3eedf032, v4
	v_add_f32_e32 v45, v45, v53
	v_mul_f32_e32 v53, 0xbf7e222b, v5
	v_add_f32_e32 v46, v46, v54
	v_add_f32_e32 v47, v47, v55
	v_mov_b32_e32 v54, v52
	v_fma_f32 v52, v39, s12, -v52
	v_fma_f32 v55, v38, s14, -v53
	v_fmac_f32_e32 v53, 0x3df6dbef, v38
	v_fmac_f32_e32 v54, 0x3f62ad3f, v39
	v_add_f32_e32 v52, v52, v56
	v_mul_f32_e32 v56, 0xbf7e222b, v4
	v_add_f32_e32 v53, v53, v58
	v_mul_f32_e32 v58, 0x3e750f2a, v5
	v_add_f32_e32 v54, v54, v57
	v_add_f32_e32 v55, v55, v59
	v_mov_b32_e32 v57, v56
	v_fma_f32 v56, v39, s14, -v56
	v_fma_f32 v59, v38, s18, -v58
	v_fmac_f32_e32 v58, 0xbf788fa5, v38
	v_mul_f32_e32 v5, 0x3f52af12, v5
	v_add_f32_e32 v56, v56, v60
	v_mul_f32_e32 v60, 0x3e750f2a, v4
	v_add_f32_e32 v58, v58, v62
	v_fma_f32 v62, v38, s13, -v5
	v_mul_f32_e32 v4, 0x3f52af12, v4
	v_fmac_f32_e32 v5, 0x3f116cb1, v38
	v_add_f32_e32 v59, v59, v63
	v_mov_b32_e32 v63, v4
	v_add_f32_e32 v5, v5, v37
	v_fma_f32 v4, v39, s13, -v4
	v_add_f32_e32 v37, v33, v7
	v_sub_f32_e32 v7, v7, v33
	v_add_f32_e32 v4, v4, v36
	v_add_f32_e32 v36, v32, v6
	v_sub_f32_e32 v6, v6, v32
	v_mul_f32_e32 v32, 0xbf29c268, v7
	v_fma_f32 v33, v36, s17, -v32
	v_fmac_f32_e32 v57, 0x3df6dbef, v39
	v_add_f32_e32 v33, v33, v35
	v_mul_f32_e32 v35, 0xbf29c268, v6
	v_fmac_f32_e32 v32, 0xbf3f9e67, v36
	v_add_f32_e32 v57, v57, v61
	v_mov_b32_e32 v61, v60
	v_mov_b32_e32 v38, v35
	v_add_f32_e32 v32, v32, v34
	v_fma_f32 v34, v37, s17, -v35
	v_mul_f32_e32 v35, 0x3f7e222b, v7
	v_fmac_f32_e32 v61, 0xbf788fa5, v39
	v_fma_f32 v60, v39, s18, -v60
	v_fmac_f32_e32 v63, 0x3f116cb1, v39
	v_add_f32_e32 v34, v34, v40
	v_fma_f32 v39, v36, s14, -v35
	v_mul_f32_e32 v40, 0x3f7e222b, v6
	v_fmac_f32_e32 v35, 0x3df6dbef, v36
	v_fmac_f32_e32 v38, 0xbf3f9e67, v37
	v_add_f32_e32 v39, v39, v42
	v_mov_b32_e32 v42, v40
	v_add_f32_e32 v35, v35, v41
	v_fma_f32 v40, v37, s14, -v40
	v_mul_f32_e32 v41, 0xbf52af12, v7
	v_add_f32_e32 v38, v38, v44
	v_fmac_f32_e32 v42, 0x3df6dbef, v37
	v_add_f32_e32 v40, v40, v43
	v_fma_f32 v43, v36, s13, -v41
	v_mul_f32_e32 v44, 0xbf52af12, v6
	v_fmac_f32_e32 v41, 0x3f116cb1, v36
	v_add_f32_e32 v42, v42, v46
	v_mov_b32_e32 v46, v44
	v_add_f32_e32 v41, v41, v45
	v_fma_f32 v44, v37, s13, -v44
	v_mul_f32_e32 v45, 0x3e750f2a, v7
	v_add_f32_e32 v43, v43, v47
	v_fmac_f32_e32 v46, 0x3f116cb1, v37
	v_add_f32_e32 v44, v44, v52
	v_fma_f32 v47, v36, s18, -v45
	v_mul_f32_e32 v52, 0x3e750f2a, v6
	v_fmac_f32_e32 v45, 0xbf788fa5, v36
	v_add_f32_e32 v46, v46, v54
	v_mov_b32_e32 v54, v52
	v_add_f32_e32 v45, v45, v53
	v_fma_f32 v52, v37, s18, -v52
	v_mul_f32_e32 v53, 0x3eedf032, v7
	v_add_f32_e32 v71, v71, v75
	v_add_f32_e32 v47, v47, v55
	;; [unrolled: 1-line block ×3, first 2 shown]
	v_fma_f32 v55, v36, s12, -v53
	v_mul_f32_e32 v56, 0x3eedf032, v6
	v_mul_f32_e32 v6, 0xbf6f5d39, v6
	v_add_f32_e32 v68, v68, v72
	v_add_f32_e32 v70, v70, v74
	v_add_f32_e32 v67, v67, v71
	v_add_f32_e32 v55, v55, v59
	v_mov_b32_e32 v59, v6
	v_add_f32_e32 v64, v64, v68
	v_add_f32_e32 v66, v66, v70
	;; [unrolled: 1-line block ×3, first 2 shown]
	v_fmac_f32_e32 v54, 0xbf788fa5, v37
	v_fmac_f32_e32 v53, 0x3f62ad3f, v36
	v_mul_f32_e32 v7, 0xbf6f5d39, v7
	v_fmac_f32_e32 v59, 0xbeb58ec6, v37
	v_add_f32_e32 v60, v60, v64
	v_add_f32_e32 v62, v62, v66
	;; [unrolled: 1-line block ×3, first 2 shown]
	v_mov_b32_e32 v57, v56
	v_add_f32_e32 v53, v53, v58
	v_fma_f32 v56, v37, s12, -v56
	v_fma_f32 v58, v36, s16, -v7
	v_add_f32_e32 v59, v59, v63
	v_sub_f32_e32 v63, v1, v3
	v_add_f32_e32 v69, v69, v73
	v_add_f32_e32 v56, v56, v60
	;; [unrolled: 1-line block ×4, first 2 shown]
	v_sub_f32_e32 v62, v0, v2
	v_mul_f32_e32 v2, 0xbe750f2a, v63
	v_add_f32_e32 v65, v65, v69
	v_fma_f32 v0, v60, s18, -v2
	v_fmac_f32_e32 v2, 0xbf788fa5, v60
	v_add_f32_e32 v61, v61, v65
	v_fmac_f32_e32 v57, 0x3f62ad3f, v37
	v_fmac_f32_e32 v7, 0xbeb58ec6, v36
	v_add_f32_e32 v119, v2, v32
	v_mul_f32_e32 v32, 0xbf29c268, v63
	v_add_f32_e32 v57, v57, v61
	v_add_f32_e32 v36, v7, v5
	v_fma_f32 v5, v37, s16, -v6
	v_add_f32_e32 v61, v3, v1
	v_add_f32_e32 v0, v0, v33
	v_fma_f32 v6, v60, s17, -v32
	v_mul_f32_e32 v33, 0xbf29c268, v62
	v_fmac_f32_e32 v32, 0xbf3f9e67, v60
	v_add_f32_e32 v109, v32, v41
	v_fma_f32 v32, v61, s17, -v33
	v_add_f32_e32 v110, v32, v44
	v_mul_f32_e32 v32, 0x3f52af12, v63
	v_mov_b32_e32 v7, v33
	v_fma_f32 v33, v60, s13, -v32
	v_add_f32_e32 v99, v33, v47
	v_mul_f32_e32 v33, 0x3f52af12, v62
	v_fmac_f32_e32 v32, 0x3f116cb1, v60
	v_mul_f32_e32 v3, 0xbe750f2a, v62
	v_add_f32_e32 v103, v32, v45
	v_fma_f32 v32, v61, s13, -v33
	v_fma_f32 v2, v61, s18, -v3
	v_add_f32_e32 v104, v32, v52
	v_mul_f32_e32 v32, 0xbf6f5d39, v63
	v_add_f32_e32 v120, v2, v34
	v_mov_b32_e32 v34, v33
	v_fma_f32 v33, v60, s16, -v32
	v_add_f32_e32 v105, v33, v55
	v_mul_f32_e32 v33, 0xbf6f5d39, v62
	v_fmac_f32_e32 v32, 0xbeb58ec6, v60
	v_add_f32_e32 v111, v32, v53
	v_fma_f32 v32, v61, s16, -v33
	v_fmac_f32_e32 v34, 0x3f116cb1, v61
	v_add_f32_e32 v112, v32, v56
	v_mul_f32_e32 v32, 0x3f7e222b, v63
	v_add_f32_e32 v100, v34, v54
	v_mov_b32_e32 v34, v33
	v_fma_f32 v33, v60, s14, -v32
	v_fmac_f32_e32 v34, 0xbeb58ec6, v61
	v_add_f32_e32 v113, v33, v58
	v_mul_f32_e32 v33, 0x3f7e222b, v62
	v_add_f32_e32 v106, v34, v57
	v_mov_b32_e32 v34, v33
	v_fmac_f32_e32 v32, 0x3df6dbef, v60
	v_sub_f32_e32 v67, v11, v49
	v_add_f32_e32 v37, v5, v4
	v_fmac_f32_e32 v34, 0x3df6dbef, v61
	v_add_f32_e32 v115, v32, v36
	v_fma_f32 v32, v61, s14, -v33
	v_mul_f32_e32 v36, 0xbeedf032, v67
	v_mov_b32_e32 v1, v3
	v_mul_f32_e32 v4, 0x3eedf032, v63
	v_add_f32_e32 v114, v34, v59
	v_add_f32_e32 v116, v32, v37
	;; [unrolled: 1-line block ×3, first 2 shown]
	v_sub_f32_e32 v73, v10, v48
	v_mov_b32_e32 v34, v36
	v_fmac_f32_e32 v1, 0xbf788fa5, v61
	v_fma_f32 v2, v60, s12, -v4
	v_mul_f32_e32 v5, 0x3eedf032, v62
	v_add_f32_e32 v33, v49, v11
	v_mul_f32_e32 v37, 0xbeedf032, v73
	v_fmac_f32_e32 v34, 0x3f62ad3f, v32
	v_add_f32_e32 v1, v1, v38
	v_add_f32_e32 v2, v2, v39
	v_mov_b32_e32 v3, v5
	v_fma_f32 v5, v61, s12, -v5
	v_add_f32_e32 v38, v34, v8
	v_fma_f32 v34, v33, s12, -v37
	v_mul_f32_e32 v39, 0xbf52af12, v67
	v_fmac_f32_e32 v3, 0x3f62ad3f, v61
	v_add_f32_e32 v5, v5, v40
	v_add_f32_e32 v40, v34, v9
	v_mov_b32_e32 v34, v39
	v_add_f32_e32 v3, v3, v42
	v_mul_f32_e32 v42, 0xbf52af12, v73
	v_fmac_f32_e32 v34, 0x3f116cb1, v32
	v_add_f32_e32 v44, v34, v8
	v_fma_f32 v34, v33, s13, -v42
	v_mul_f32_e32 v45, 0xbf7e222b, v67
	v_add_f32_e32 v47, v34, v9
	v_mov_b32_e32 v34, v45
	v_mul_f32_e32 v53, 0xbf7e222b, v73
	v_fmac_f32_e32 v34, 0x3df6dbef, v32
	v_add_f32_e32 v52, v34, v8
	v_fma_f32 v34, v33, s14, -v53
	v_mul_f32_e32 v57, 0xbf6f5d39, v67
	v_add_f32_e32 v55, v34, v9
	v_mov_b32_e32 v34, v57
	v_fmac_f32_e32 v4, 0x3f62ad3f, v60
	v_mul_f32_e32 v60, 0xbf6f5d39, v73
	v_fmac_f32_e32 v34, 0xbeb58ec6, v32
	v_add_f32_e32 v56, v34, v8
	v_fma_f32 v34, v33, s16, -v60
	v_mul_f32_e32 v65, 0xbf29c268, v67
	v_add_f32_e32 v59, v34, v9
	v_mov_b32_e32 v34, v65
	v_sub_f32_e32 v76, v17, v31
	v_fmac_f32_e32 v7, 0xbf3f9e67, v61
	v_fmac_f32_e32 v34, 0xbf3f9e67, v32
	v_mul_f32_e32 v41, 0xbf52af12, v76
	v_add_f32_e32 v7, v7, v46
	v_add_f32_e32 v61, v34, v8
	;; [unrolled: 1-line block ×3, first 2 shown]
	v_sub_f32_e32 v81, v16, v30
	v_mov_b32_e32 v46, v41
	v_add_f32_e32 v4, v4, v35
	v_add_f32_e32 v6, v6, v43
	;; [unrolled: 1-line block ×3, first 2 shown]
	v_mul_f32_e32 v43, 0xbf52af12, v81
	v_fmac_f32_e32 v46, 0x3f116cb1, v34
	v_add_f32_e32 v62, v46, v38
	v_fma_f32 v38, v35, s13, -v43
	v_mul_f32_e32 v46, 0xbf6f5d39, v76
	v_add_f32_e32 v64, v38, v40
	v_mov_b32_e32 v38, v46
	v_mul_f32_e32 v54, 0xbf6f5d39, v81
	v_fmac_f32_e32 v38, 0xbeb58ec6, v34
	v_add_f32_e32 v44, v38, v44
	v_fma_f32 v38, v35, s16, -v54
	v_mul_f32_e32 v58, 0xbe750f2a, v76
	v_add_f32_e32 v47, v38, v47
	v_mov_b32_e32 v38, v58
	;; [unrolled: 7-line block ×4, first 2 shown]
	v_sub_f32_e32 v83, v19, v29
	v_fmac_f32_e32 v38, 0x3df6dbef, v34
	v_mul_f32_e32 v52, 0xbf7e222b, v83
	v_add_f32_e32 v117, v38, v61
	v_add_f32_e32 v38, v28, v18
	v_sub_f32_e32 v86, v18, v28
	v_mov_b32_e32 v59, v52
	v_add_f32_e32 v40, v29, v19
	v_mul_f32_e32 v55, 0xbf7e222b, v86
	v_fmac_f32_e32 v59, 0x3df6dbef, v38
	v_add_f32_e32 v61, v59, v62
	v_fma_f32 v59, v40, s14, -v55
	v_add_f32_e32 v75, v59, v64
	v_mul_f32_e32 v59, 0xbe750f2a, v83
	v_mov_b32_e32 v62, v59
	v_mul_f32_e32 v64, 0xbe750f2a, v86
	v_fmac_f32_e32 v62, 0xbf788fa5, v38
	v_add_f32_e32 v79, v62, v44
	v_fma_f32 v44, v40, s18, -v64
	v_mul_f32_e32 v70, 0x3f6f5d39, v83
	v_add_f32_e32 v82, v44, v47
	v_mov_b32_e32 v44, v70
	v_mul_f32_e32 v74, 0x3f6f5d39, v86
	v_fmac_f32_e32 v44, 0xbeb58ec6, v38
	v_add_f32_e32 v84, v44, v66
	v_fma_f32 v44, v40, s16, -v74
	v_mul_f32_e32 v78, 0x3eedf032, v83
	v_add_f32_e32 v68, v44, v68
	v_mov_b32_e32 v44, v78
	v_mul_f32_e32 v80, 0x3eedf032, v86
	v_fmac_f32_e32 v44, 0x3f62ad3f, v38
	v_sub_f32_e32 v87, v21, v27
	v_add_f32_e32 v56, v44, v56
	v_fma_f32 v44, v40, s12, -v80
	v_mul_f32_e32 v62, 0xbf6f5d39, v87
	v_add_f32_e32 v88, v44, v71
	v_add_f32_e32 v44, v26, v20
	v_sub_f32_e32 v90, v20, v26
	v_mov_b32_e32 v71, v62
	v_add_f32_e32 v47, v27, v21
	v_mul_f32_e32 v66, 0xbf6f5d39, v90
	v_fmac_f32_e32 v71, 0xbeb58ec6, v44
	v_add_f32_e32 v91, v71, v61
	v_fma_f32 v61, v47, s16, -v66
	v_mul_f32_e32 v71, 0x3f29c268, v87
	v_add_f32_e32 v93, v61, v75
	v_mov_b32_e32 v61, v71
	v_mul_f32_e32 v75, 0x3f29c268, v90
	v_fmac_f32_e32 v61, 0xbf3f9e67, v44
	v_add_f32_e32 v94, v61, v79
	v_fma_f32 v61, v47, s17, -v75
	v_mul_f32_e32 v79, 0x3eedf032, v87
	v_add_f32_e32 v96, v61, v82
	v_mov_b32_e32 v61, v79
	;; [unrolled: 7-line block ×3, first 2 shown]
	v_mul_f32_e32 v85, 0xbf7e222b, v90
	v_fmac_f32_e32 v61, 0x3df6dbef, v44
	v_sub_f32_e32 v92, v23, v25
	v_mul_lo_u16_e32 v89, 13, v172
	v_add_f32_e32 v102, v61, v56
	v_fma_f32 v56, v47, s14, -v85
	v_lshlrev_b32_e32 v177, 3, v89
	v_mul_f32_e32 v97, 0xbf52af12, v92
	v_add_f32_e32 v88, v56, v88
	v_add_f32_e32 v56, v24, v22
	v_sub_f32_e32 v95, v22, v24
	s_barrier
	ds_write2_b64 v177, v[50:51], v[0:1] offset1:1
	v_mul_f32_e32 v51, 0xbf29c268, v92
	ds_write2_b64 v177, v[2:3], v[6:7] offset0:2 offset1:3
	v_mov_b32_e32 v2, v97
	v_add_f32_e32 v61, v25, v23
	v_mov_b32_e32 v0, v51
	v_mul_f32_e32 v98, 0xbf52af12, v95
	v_fmac_f32_e32 v2, 0x3f116cb1, v56
	v_fmac_f32_e32 v0, 0xbf3f9e67, v56
	v_add_f32_e32 v6, v2, v101
	v_fma_f32 v2, v61, s13, -v98
	v_mul_f32_e32 v101, 0x3e750f2a, v92
	v_mul_f32_e32 v89, 0xbf29c268, v95
	v_add_f32_e32 v0, v0, v91
	v_mul_f32_e32 v91, 0x3f7e222b, v92
	v_add_f32_e32 v7, v2, v68
	v_mov_b32_e32 v2, v101
	v_fma_f32 v1, v61, s17, -v89
	v_mov_b32_e32 v50, v91
	v_fmac_f32_e32 v2, 0xbf788fa5, v56
	v_add_f32_e32 v1, v1, v93
	v_fmac_f32_e32 v50, 0x3df6dbef, v56
	v_mul_f32_e32 v93, 0x3f7e222b, v95
	v_add_f32_e32 v68, v2, v102
	v_mul_f32_e32 v102, 0x3e750f2a, v95
	v_sub_f32_e32 v107, v13, v15
	v_add_f32_e32 v118, v50, v94
	v_fma_f32 v50, v61, s14, -v93
	v_fma_f32 v2, v61, s18, -v102
	v_mul_f32_e32 v94, 0xbe750f2a, v107
	v_add_f32_e32 v121, v50, v96
	v_add_f32_e32 v122, v2, v88
	;; [unrolled: 1-line block ×3, first 2 shown]
	v_sub_f32_e32 v108, v12, v14
	v_mov_b32_e32 v2, v94
	v_add_f32_e32 v88, v15, v13
	v_mul_f32_e32 v96, 0xbe750f2a, v108
	v_fmac_f32_e32 v2, 0xbf788fa5, v50
	ds_write2_b64 v177, v[99:100], v[105:106] offset0:4 offset1:5
	v_add_f32_e32 v167, v2, v0
	v_fma_f32 v0, v88, s18, -v96
	v_mul_f32_e32 v99, 0x3eedf032, v107
	v_add_f32_e32 v168, v0, v1
	v_mov_b32_e32 v0, v99
	v_mul_f32_e32 v100, 0x3eedf032, v108
	v_fmac_f32_e32 v0, 0x3f62ad3f, v50
	ds_write2_b64 v177, v[111:112], v[103:104] offset0:8 offset1:9
	v_add_f32_e32 v2, v0, v118
	v_fma_f32 v0, v88, s12, -v100
	v_mul_f32_e32 v103, 0xbf29c268, v107
	v_mul_f32_e32 v105, 0x3f52af12, v107
	v_add_f32_e32 v3, v0, v121
	v_mov_b32_e32 v0, v103
	ds_write2_b64 v177, v[109:110], v[4:5] offset0:10 offset1:11
	v_mov_b32_e32 v4, v105
	v_fmac_f32_e32 v0, 0xbf3f9e67, v50
	v_mul_f32_e32 v104, 0xbf29c268, v108
	v_mul_f32_e32 v106, 0x3f52af12, v108
	v_fmac_f32_e32 v4, 0x3f116cb1, v50
	v_add_f32_e32 v0, v0, v6
	v_fma_f32 v1, v88, s17, -v104
	v_add_f32_e32 v6, v4, v68
	v_fma_f32 v4, v88, s13, -v106
	v_mul_f32_e32 v109, 0xbf52af12, v83
	v_add_f32_e32 v1, v1, v7
	v_add_f32_e32 v7, v4, v122
	v_mov_b32_e32 v4, v109
	v_mul_f32_e32 v110, 0x3e750f2a, v87
	v_fmac_f32_e32 v4, 0x3f116cb1, v38
	v_mov_b32_e32 v5, v110
	v_add_f32_e32 v4, v4, v117
	v_fmac_f32_e32 v5, 0xbf788fa5, v44
	v_mul_f32_e32 v111, 0x3eedf032, v92
	v_add_f32_e32 v4, v5, v4
	v_mov_b32_e32 v5, v111
	v_fmac_f32_e32 v5, 0x3f62ad3f, v56
	v_mul_f32_e32 v112, 0xbf6f5d39, v107
	v_add_f32_e32 v4, v5, v4
	v_mov_b32_e32 v5, v112
	ds_write2_b64 v177, v[113:114], v[115:116] offset0:6 offset1:7
	v_fmac_f32_e32 v5, 0xbeb58ec6, v50
	v_mul_f32_e32 v113, 0xbf29c268, v73
	v_add_f32_e32 v4, v5, v4
	v_fma_f32 v5, v33, s17, -v113
	v_mul_f32_e32 v114, 0x3f7e222b, v81
	v_add_f32_e32 v5, v5, v9
	v_fma_f32 v68, v35, s14, -v114
	;; [unrolled: 3-line block ×6, first 2 shown]
	s_movk_i32 s19, 0x5b
	v_add_f32_e32 v5, v68, v5
	v_add_co_u32_e64 v68, s[2:3], s19, v172
	v_mul_u32_u24_e32 v173, 13, v68
	ds_write_b64 v177, v[119:120] offset:96
	s_and_saveexec_b64 s[2:3], s[0:1]
	s_cbranch_execz .LBB0_7
; %bb.6:
	v_mul_f32_e32 v214, 0xbe750f2a, v73
	v_mov_b32_e32 v73, v214
	v_mul_f32_e32 v81, 0x3eedf032, v81
	v_fmac_f32_e32 v73, 0xbf788fa5, v33
	v_mov_b32_e32 v215, v81
	v_add_f32_e32 v73, v73, v9
	v_fmac_f32_e32 v215, 0x3f62ad3f, v35
	v_add_f32_e32 v73, v215, v73
	v_mul_f32_e32 v215, 0xbf29c268, v86
	v_mov_b32_e32 v86, v215
	v_fmac_f32_e32 v86, 0xbf3f9e67, v40
	v_mul_f32_e32 v90, 0x3f52af12, v90
	v_add_f32_e32 v73, v86, v73
	v_mov_b32_e32 v86, v90
	v_fmac_f32_e32 v86, 0x3f116cb1, v47
	v_mul_f32_e32 v95, 0xbf6f5d39, v95
	v_add_f32_e32 v73, v86, v73
	;; [unrolled: 4-line block ×4, first 2 shown]
	v_fma_f32 v73, v32, s18, -v67
	v_mul_f32_e32 v217, 0x3eedf032, v76
	v_add_f32_e32 v73, v73, v8
	v_fma_f32 v76, v34, s12, -v217
	v_mul_f32_e32 v83, 0xbf29c268, v83
	v_add_f32_e32 v73, v76, v73
	;; [unrolled: 3-line block ×4, first 2 shown]
	v_fma_f32 v76, v56, s16, -v92
	v_mul_f32_e32 v219, 0x3f7e222b, v107
	v_mul_f32_e32 v128, 0xbf3f9e67, v33
	v_add_f32_e32 v73, v76, v73
	v_fma_f32 v76, v50, s14, -v219
	v_mul_f32_e32 v169, 0x3df6dbef, v35
	v_add_f32_e32 v107, v76, v73
	v_add_f32_e32 v73, v113, v128
	v_mul_f32_e32 v183, 0x3f116cb1, v40
	v_add_f32_e32 v73, v73, v9
	v_add_f32_e32 v76, v114, v169
	;; [unrolled: 3-line block ×4, first 2 shown]
	v_mul_f32_e32 v127, 0xbf3f9e67, v32
	v_mul_f32_e32 v213, 0xbeb58ec6, v88
	v_add_f32_e32 v73, v76, v73
	v_add_f32_e32 v76, v117, v203
	v_mul_f32_e32 v137, 0x3df6dbef, v34
	v_add_f32_e32 v73, v76, v73
	v_add_f32_e32 v76, v118, v213
	v_sub_f32_e32 v65, v127, v65
	v_mul_f32_e32 v182, 0x3f116cb1, v38
	v_add_f32_e32 v87, v76, v73
	v_add_f32_e32 v65, v65, v8
	v_sub_f32_e32 v73, v137, v77
	v_mul_f32_e32 v192, 0xbf788fa5, v44
	v_add_f32_e32 v65, v73, v65
	v_sub_f32_e32 v73, v182, v109
	v_mul_f32_e32 v202, 0x3f62ad3f, v56
	v_add_f32_e32 v65, v73, v65
	v_sub_f32_e32 v73, v192, v110
	v_mul_f32_e32 v126, 0xbeb58ec6, v33
	v_mul_f32_e32 v212, 0xbeb58ec6, v50
	v_add_f32_e32 v65, v73, v65
	v_sub_f32_e32 v73, v202, v111
	v_mul_f32_e32 v136, 0xbf3f9e67, v35
	v_add_f32_e32 v65, v73, v65
	v_sub_f32_e32 v73, v212, v112
	v_add_f32_e32 v60, v60, v126
	v_mul_f32_e32 v181, 0x3f62ad3f, v40
	v_add_f32_e32 v86, v73, v65
	v_add_f32_e32 v60, v60, v9
	v_add_f32_e32 v65, v72, v136
	v_mul_f32_e32 v191, 0x3df6dbef, v47
	v_add_f32_e32 v60, v65, v60
	v_add_f32_e32 v65, v80, v181
	v_mul_f32_e32 v201, 0xbf788fa5, v61
	v_add_f32_e32 v60, v65, v60
	v_add_f32_e32 v65, v85, v191
	v_mul_f32_e32 v125, 0xbeb58ec6, v32
	v_mul_f32_e32 v211, 0x3f116cb1, v88
	v_add_f32_e32 v60, v65, v60
	v_add_f32_e32 v65, v102, v201
	v_mul_f32_e32 v135, 0xbf3f9e67, v34
	v_add_f32_e32 v60, v65, v60
	v_add_f32_e32 v65, v106, v211
	v_sub_f32_e32 v57, v125, v57
	v_mul_f32_e32 v180, 0x3f62ad3f, v38
	v_add_f32_e32 v73, v65, v60
	v_add_f32_e32 v57, v57, v8
	v_sub_f32_e32 v60, v135, v69
	v_mul_f32_e32 v190, 0x3df6dbef, v44
	v_add_f32_e32 v57, v60, v57
	v_sub_f32_e32 v60, v180, v78
	v_mul_f32_e32 v200, 0xbf788fa5, v56
	v_add_f32_e32 v57, v60, v57
	v_sub_f32_e32 v60, v190, v84
	v_mul_f32_e32 v124, 0x3df6dbef, v33
	v_mul_f32_e32 v210, 0x3f116cb1, v50
	v_add_f32_e32 v57, v60, v57
	v_sub_f32_e32 v60, v200, v101
	v_mul_f32_e32 v134, 0xbf788fa5, v35
	v_add_f32_e32 v57, v60, v57
	v_sub_f32_e32 v60, v210, v105
	v_add_f32_e32 v53, v53, v124
	v_mul_f32_e32 v179, 0xbeb58ec6, v40
	v_add_f32_e32 v72, v60, v57
	v_add_f32_e32 v53, v53, v9
	v_add_f32_e32 v57, v63, v134
	v_mul_f32_e32 v189, 0x3f62ad3f, v47
	v_add_f32_e32 v53, v57, v53
	v_add_f32_e32 v57, v74, v179
	v_mul_f32_e32 v199, 0x3f116cb1, v61
	v_add_f32_e32 v53, v57, v53
	v_add_f32_e32 v57, v82, v189
	;; [unrolled: 36-line block ×3, first 2 shown]
	v_mul_f32_e32 v121, 0x3f116cb1, v32
	v_mul_f32_e32 v207, 0x3f62ad3f, v88
	v_add_f32_e32 v42, v45, v42
	v_add_f32_e32 v45, v93, v197
	v_mul_f32_e32 v131, 0xbeb58ec6, v34
	v_add_f32_e32 v42, v45, v42
	v_add_f32_e32 v45, v100, v207
	v_sub_f32_e32 v39, v121, v39
	v_mul_f32_e32 v175, 0xbf788fa5, v38
	v_add_f32_e32 v54, v45, v42
	v_add_f32_e32 v39, v39, v8
	v_sub_f32_e32 v42, v131, v46
	v_mul_f32_e32 v186, 0xbf3f9e67, v44
	v_add_f32_e32 v39, v42, v39
	v_sub_f32_e32 v42, v175, v59
	v_mul_f32_e32 v196, 0x3df6dbef, v56
	;; [unrolled: 3-line block ×3, first 2 shown]
	v_mul_f32_e32 v206, 0x3f62ad3f, v50
	v_add_f32_e32 v39, v42, v39
	v_sub_f32_e32 v42, v196, v91
	v_mul_f32_e32 v130, 0x3f116cb1, v35
	v_add_f32_e32 v39, v42, v39
	v_sub_f32_e32 v42, v206, v99
	v_add_f32_e32 v37, v37, v120
	v_add_f32_e32 v11, v11, v9
	v_add_f32_e32 v10, v10, v8
	v_mul_f32_e32 v174, 0x3df6dbef, v40
	v_add_f32_e32 v53, v42, v39
	v_add_f32_e32 v37, v37, v9
	;; [unrolled: 1-line block ×5, first 2 shown]
	v_mul_f32_e32 v185, 0xbeb58ec6, v47
	v_add_f32_e32 v37, v39, v37
	v_add_f32_e32 v39, v55, v174
	;; [unrolled: 1-line block ×4, first 2 shown]
	v_mul_f32_e32 v195, 0xbf3f9e67, v61
	v_add_f32_e32 v37, v39, v37
	v_add_f32_e32 v39, v66, v185
	;; [unrolled: 1-line block ×4, first 2 shown]
	v_mul_f32_e32 v119, 0x3f62ad3f, v32
	v_mul_f32_e32 v205, 0xbf788fa5, v88
	v_add_f32_e32 v37, v39, v37
	v_add_f32_e32 v39, v89, v195
	;; [unrolled: 1-line block ×4, first 2 shown]
	v_mul_f32_e32 v129, 0x3f116cb1, v34
	v_add_f32_e32 v37, v39, v37
	v_add_f32_e32 v39, v96, v205
	v_sub_f32_e32 v36, v119, v36
	v_add_f32_e32 v11, v13, v11
	v_add_f32_e32 v10, v12, v10
	v_fma_f32 v12, v33, s18, -v214
	v_mul_f32_e32 v170, 0x3df6dbef, v38
	v_add_f32_e32 v37, v39, v37
	v_add_f32_e32 v36, v36, v8
	v_sub_f32_e32 v39, v129, v41
	v_add_f32_e32 v11, v15, v11
	v_add_f32_e32 v10, v14, v10
	;; [unrolled: 1-line block ×3, first 2 shown]
	v_fma_f32 v12, v35, s12, -v81
	v_fmac_f32_e32 v67, 0xbf788fa5, v32
	v_mul_f32_e32 v184, 0xbeb58ec6, v44
	v_add_f32_e32 v36, v39, v36
	v_sub_f32_e32 v39, v170, v52
	v_add_f32_e32 v11, v25, v11
	v_add_f32_e32 v10, v24, v10
	v_add_f32_e32 v9, v12, v9
	v_fma_f32 v12, v40, s17, -v215
	v_add_f32_e32 v8, v67, v8
	v_fmac_f32_e32 v217, 0x3f62ad3f, v34
	v_mul_f32_e32 v194, 0xbf3f9e67, v56
	v_add_f32_e32 v36, v39, v36
	v_sub_f32_e32 v39, v184, v62
	v_add_f32_e32 v11, v27, v11
	v_add_f32_e32 v10, v26, v10
	v_add_f32_e32 v9, v12, v9
	v_fma_f32 v12, v47, s13, -v90
	v_add_f32_e32 v8, v217, v8
	v_fmac_f32_e32 v83, 0xbf3f9e67, v38
	v_mul_f32_e32 v204, 0xbf788fa5, v50
	v_add_f32_e32 v36, v39, v36
	v_sub_f32_e32 v39, v194, v51
	v_add_f32_e32 v11, v29, v11
	v_add_f32_e32 v10, v28, v10
	v_add_f32_e32 v9, v12, v9
	v_fma_f32 v12, v61, s16, -v95
	v_add_f32_e32 v8, v83, v8
	v_fmac_f32_e32 v218, 0x3f116cb1, v44
	v_add_f32_e32 v36, v39, v36
	v_sub_f32_e32 v39, v204, v94
	v_add_f32_e32 v11, v31, v11
	v_add_f32_e32 v10, v30, v10
	;; [unrolled: 1-line block ×3, first 2 shown]
	v_fma_f32 v12, v88, s14, -v216
	v_add_f32_e32 v8, v218, v8
	v_fmac_f32_e32 v92, 0xbeb58ec6, v56
	v_add_f32_e32 v36, v39, v36
	v_add_f32_e32 v11, v49, v11
	;; [unrolled: 1-line block ×5, first 2 shown]
	v_fmac_f32_e32 v219, 0x3df6dbef, v50
	v_lshlrev_b32_e32 v12, 3, v173
	v_add_f32_e32 v8, v219, v8
	ds_write2_b64 v12, v[10:11], v[36:37] offset1:1
	ds_write2_b64 v12, v[53:54], v[76:77] offset0:2 offset1:3
	ds_write2_b64 v12, v[72:73], v[86:87] offset0:4 offset1:5
	;; [unrolled: 1-line block ×5, first 2 shown]
	ds_write_b64 v12, v[167:168] offset:96
.LBB0_7:
	s_or_b64 exec, exec, s[2:3]
	s_movk_i32 s2, 0x4f
	v_mul_lo_u16_sdwa v8, v172, s2 dst_sel:DWORD dst_unused:UNUSED_PAD src0_sel:BYTE_0 src1_sel:DWORD
	v_lshrrev_b16_e32 v75, 10, v8
	v_mul_lo_u16_e32 v8, 13, v75
	v_mul_lo_u16_sdwa v13, v68, s2 dst_sel:DWORD dst_unused:UNUSED_PAD src0_sel:BYTE_0 src1_sel:DWORD
	v_sub_u16_e32 v8, v172, v8
	v_lshrrev_b16_e32 v90, 10, v13
	v_and_b32_e32 v89, 0xff, v8
	v_mul_lo_u16_e32 v13, 13, v90
	v_mul_u32_u24_e32 v8, 6, v89
	v_sub_u16_e32 v13, v68, v13
	v_lshlrev_b32_e32 v12, 3, v8
	v_and_b32_e32 v91, 0xff, v13
	s_waitcnt lgkmcnt(0)
	s_barrier
	global_load_dwordx4 v[16:19], v12, s[4:5]
	global_load_dwordx4 v[8:11], v12, s[4:5] offset:16
	global_load_dwordx4 v[32:35], v12, s[4:5] offset:32
	v_mul_u32_u24_e32 v12, 6, v91
	s_movk_i32 s2, 0xb6
	v_lshlrev_b32_e32 v28, 3, v12
	s_movk_i32 s12, 0x4ec5
	v_add_co_u32_e64 v76, s[2:3], s2, v172
	global_load_dwordx4 v[24:27], v28, s[4:5]
	global_load_dwordx4 v[20:23], v28, s[4:5] offset:16
	global_load_dwordx4 v[12:15], v28, s[4:5] offset:32
	v_mul_u32_u24_sdwa v28, v76, s12 dst_sel:DWORD dst_unused:UNUSED_PAD src0_sel:WORD_0 src1_sel:DWORD
	v_lshrrev_b32_e32 v92, 18, v28
	v_mul_lo_u16_e32 v28, 13, v92
	v_sub_u16_e32 v93, v76, v28
	v_mul_lo_u16_e32 v28, 6, v93
	v_lshlrev_b32_e32 v28, 3, v28
	global_load_dwordx4 v[40:43], v28, s[4:5]
	global_load_dwordx4 v[36:39], v28, s[4:5] offset:16
	ds_read2_b64 v[44:47], v171 offset1:91
	global_load_dwordx4 v[28:31], v28, s[4:5] offset:32
	v_add_u32_e32 v118, 0x400, v171
	v_add_u32_e32 v114, 0x1000, v171
	v_add_u32_e32 v117, 0x1400, v171
	v_add_u32_e32 v112, 0x2000, v171
	v_add_u32_e32 v122, 0x2400, v171
	v_add_u32_e32 v116, 0x3000, v171
	v_add_u32_e32 v115, 0x800, v171
	v_add_u32_e32 v113, 0x1800, v171
	v_add_u32_e32 v130, 0x2c00, v171
	ds_read_b64 v[73:74], v171 offset:14560
	ds_read2_b64 v[48:51], v118 offset0:54 offset1:145
	ds_read2_b64 v[52:55], v114 offset0:34 offset1:125
	;; [unrolled: 1-line block ×9, first 2 shown]
	s_mov_b32 s12, 0x3f5ff5aa
	s_mov_b32 s14, 0x3f3bfb3b
	s_mov_b32 s13, 0xbf3bfb3b
	s_mov_b32 s16, 0xbeae86e6
	v_mul_u32_u24_e32 v75, 0x5b, v75
	v_add_lshl_u32 v174, v75, v89, 3
	s_waitcnt vmcnt(0) lgkmcnt(0)
	s_barrier
	v_lshlrev_b32_e32 v68, 4, v68
	v_mul_f32_e32 v95, v50, v17
	v_mul_f32_e32 v96, v53, v19
	;; [unrolled: 1-line block ×5, first 2 shown]
	v_fmac_f32_e32 v103, v67, v32
	v_mul_f32_e32 v94, v51, v17
	v_mul_f32_e32 v108, v55, v27
	;; [unrolled: 1-line block ×4, first 2 shown]
	v_fma_f32 v67, v54, v26, -v108
	v_mul_f32_e32 v54, v63, v23
	v_mul_f32_e32 v97, v52, v19
	;; [unrolled: 1-line block ×4, first 2 shown]
	v_fmac_f32_e32 v95, v51, v16
	v_fma_f32 v51, v52, v18, -v96
	v_fma_f32 v52, v58, v8, -v98
	;; [unrolled: 1-line block ×5, first 2 shown]
	v_mul_f32_e32 v62, v62, v23
	v_mul_f32_e32 v54, v86, v13
	;; [unrolled: 1-line block ×5, first 2 shown]
	v_fmac_f32_e32 v62, v63, v22
	v_fma_f32 v63, v85, v12, -v54
	v_mul_f32_e32 v54, v72, v15
	v_fmac_f32_e32 v99, v59, v8
	v_fma_f32 v59, v69, v34, -v104
	v_fmac_f32_e32 v105, v70, v34
	v_fma_f32 v69, v81, v20, -v110
	v_mul_f32_e32 v70, v81, v21
	v_fma_f32 v81, v71, v14, -v54
	v_mul_f32_e32 v54, v80, v41
	v_fmac_f32_e32 v70, v82, v20
	v_fma_f32 v82, v79, v40, -v54
	v_mul_f32_e32 v79, v79, v41
	v_mul_f32_e32 v54, v57, v43
	v_fmac_f32_e32 v107, v78, v24
	v_mul_f32_e32 v78, v85, v13
	v_fmac_f32_e32 v79, v80, v40
	v_fma_f32 v80, v56, v42, -v54
	v_mul_f32_e32 v54, v84, v37
	v_fmac_f32_e32 v78, v86, v12
	v_fma_f32 v86, v83, v36, -v54
	v_mul_f32_e32 v83, v83, v37
	v_mul_f32_e32 v54, v65, v39
	v_fmac_f32_e32 v83, v84, v36
	v_fma_f32 v84, v64, v38, -v54
	v_mul_f32_e32 v54, v88, v29
	v_mul_f32_e32 v100, v61, v11
	v_fma_f32 v50, v50, v16, -v94
	v_mul_f32_e32 v85, v56, v43
	v_fma_f32 v96, v87, v28, -v54
	v_mul_f32_e32 v87, v87, v29
	v_mul_f32_e32 v54, v74, v31
	;; [unrolled: 1-line block ×3, first 2 shown]
	v_fmac_f32_e32 v97, v53, v18
	v_fma_f32 v53, v60, v10, -v100
	v_fmac_f32_e32 v85, v57, v42
	v_fmac_f32_e32 v87, v88, v28
	v_fma_f32 v88, v73, v30, -v54
	v_add_f32_e32 v54, v50, v59
	v_add_f32_e32 v57, v51, v58
	v_fmac_f32_e32 v101, v61, v10
	v_fmac_f32_e32 v109, v55, v26
	v_mul_f32_e32 v71, v71, v15
	v_mul_f32_e32 v94, v64, v39
	v_add_f32_e32 v55, v95, v105
	v_sub_f32_e32 v50, v50, v59
	v_add_f32_e32 v59, v97, v103
	v_add_f32_e32 v60, v52, v53
	;; [unrolled: 1-line block ×3, first 2 shown]
	v_fmac_f32_e32 v71, v72, v14
	v_fmac_f32_e32 v94, v65, v38
	v_add_f32_e32 v61, v99, v101
	v_add_f32_e32 v65, v59, v55
	v_sub_f32_e32 v72, v57, v54
	v_sub_f32_e32 v54, v54, v60
	;; [unrolled: 1-line block ×3, first 2 shown]
	v_add_f32_e32 v60, v60, v64
	v_mul_f32_e32 v98, v73, v31
	v_sub_f32_e32 v51, v51, v58
	v_sub_f32_e32 v52, v53, v52
	;; [unrolled: 1-line block ×5, first 2 shown]
	v_add_f32_e32 v61, v61, v65
	v_add_f32_e32 v44, v44, v60
	v_fmac_f32_e32 v98, v74, v30
	v_sub_f32_e32 v56, v95, v105
	v_sub_f32_e32 v58, v97, v103
	;; [unrolled: 1-line block ×3, first 2 shown]
	v_add_f32_e32 v74, v52, v51
	v_sub_f32_e32 v97, v52, v51
	v_sub_f32_e32 v51, v51, v50
	v_add_f32_e32 v45, v45, v61
	v_mov_b32_e32 v100, v44
	v_add_f32_e32 v95, v53, v58
	v_sub_f32_e32 v99, v53, v58
	v_sub_f32_e32 v52, v50, v52
	;; [unrolled: 1-line block ×3, first 2 shown]
	v_add_f32_e32 v50, v74, v50
	v_mul_f32_e32 v54, 0x3f4a47b2, v54
	v_mul_f32_e32 v55, 0x3f4a47b2, v55
	;; [unrolled: 1-line block ×6, first 2 shown]
	v_fmac_f32_e32 v100, 0xbf955555, v60
	v_mov_b32_e32 v60, v45
	v_sub_f32_e32 v53, v56, v53
	v_add_f32_e32 v56, v95, v56
	v_mul_f32_e32 v95, 0xbf08b237, v99
	v_mul_f32_e32 v99, 0x3f5ff5aa, v58
	v_fmac_f32_e32 v60, 0xbf955555, v61
	v_fma_f32 v61, v72, s14, -v64
	v_fma_f32 v64, v73, s14, -v65
	;; [unrolled: 1-line block ×3, first 2 shown]
	v_fmac_f32_e32 v54, 0x3d64c772, v57
	v_fma_f32 v57, v73, s13, -v55
	v_fmac_f32_e32 v55, 0x3d64c772, v59
	v_fma_f32 v59, v51, s12, -v74
	v_fma_f32 v72, v52, s16, -v97
	v_fmac_f32_e32 v74, 0x3eae86e6, v52
	v_fma_f32 v58, v58, s12, -v95
	v_fma_f32 v73, v53, s16, -v99
	v_add_f32_e32 v99, v55, v60
	v_add_f32_e32 v64, v64, v60
	;; [unrolled: 1-line block ×3, first 2 shown]
	v_fmac_f32_e32 v59, 0x3ee1c552, v50
	v_fmac_f32_e32 v72, 0x3ee1c552, v50
	;; [unrolled: 1-line block ×3, first 2 shown]
	v_add_f32_e32 v61, v61, v100
	v_add_f32_e32 v65, v65, v100
	v_fmac_f32_e32 v74, 0x3ee1c552, v50
	v_fmac_f32_e32 v58, 0x3ee1c552, v56
	;; [unrolled: 1-line block ×3, first 2 shown]
	v_sub_f32_e32 v53, v60, v72
	v_add_f32_e32 v55, v59, v64
	v_sub_f32_e32 v57, v64, v59
	v_add_f32_e32 v59, v72, v60
	v_add_f32_e32 v64, v66, v81
	;; [unrolled: 1-line block ×4, first 2 shown]
	v_fmac_f32_e32 v95, 0x3ee1c552, v56
	v_sub_f32_e32 v51, v99, v74
	v_add_f32_e32 v52, v73, v65
	v_sub_f32_e32 v54, v61, v58
	v_add_f32_e32 v56, v58, v61
	;; [unrolled: 2-line block ×3, first 2 shown]
	v_add_f32_e32 v65, v107, v71
	v_add_f32_e32 v73, v109, v78
	v_sub_f32_e32 v63, v67, v63
	v_sub_f32_e32 v67, v109, v78
	v_add_f32_e32 v74, v69, v77
	v_add_f32_e32 v78, v70, v62
	v_sub_f32_e32 v62, v62, v70
	v_add_f32_e32 v70, v72, v64
	v_sub_f32_e32 v69, v77, v69
	v_add_f32_e32 v77, v73, v65
	v_add_f32_e32 v70, v74, v70
	v_sub_f32_e32 v66, v66, v81
	v_sub_f32_e32 v71, v107, v71
	;; [unrolled: 1-line block ×5, first 2 shown]
	v_add_f32_e32 v74, v78, v77
	v_add_f32_e32 v46, v46, v70
	v_add_f32_e32 v50, v95, v97
	v_sub_f32_e32 v60, v97, v95
	v_sub_f32_e32 v95, v73, v65
	v_sub_f32_e32 v65, v65, v78
	v_sub_f32_e32 v73, v78, v73
	v_add_f32_e32 v97, v69, v63
	v_add_f32_e32 v99, v62, v67
	v_sub_f32_e32 v100, v69, v63
	v_sub_f32_e32 v101, v62, v67
	;; [unrolled: 1-line block ×4, first 2 shown]
	v_add_f32_e32 v47, v47, v74
	v_mov_b32_e32 v102, v46
	v_sub_f32_e32 v69, v66, v69
	v_sub_f32_e32 v62, v71, v62
	v_add_f32_e32 v66, v97, v66
	v_add_f32_e32 v71, v99, v71
	v_mul_f32_e32 v64, 0x3f4a47b2, v64
	v_mul_f32_e32 v65, 0x3f4a47b2, v65
	;; [unrolled: 1-line block ×8, first 2 shown]
	v_fmac_f32_e32 v102, 0xbf955555, v70
	v_mov_b32_e32 v70, v47
	v_fmac_f32_e32 v70, 0xbf955555, v74
	v_fma_f32 v74, v81, s14, -v77
	v_fma_f32 v77, v95, s14, -v78
	;; [unrolled: 1-line block ×3, first 2 shown]
	v_fmac_f32_e32 v64, 0x3d64c772, v72
	v_fma_f32 v72, v95, s13, -v65
	v_fma_f32 v81, v67, s12, -v99
	;; [unrolled: 1-line block ×4, first 2 shown]
	v_fmac_f32_e32 v65, 0x3d64c772, v73
	v_fma_f32 v73, v63, s12, -v97
	v_fmac_f32_e32 v97, 0x3eae86e6, v69
	v_fmac_f32_e32 v99, 0x3eae86e6, v62
	v_add_f32_e32 v69, v74, v102
	v_add_f32_e32 v74, v77, v70
	;; [unrolled: 1-line block ×3, first 2 shown]
	v_fmac_f32_e32 v81, 0x3ee1c552, v71
	v_fmac_f32_e32 v100, 0x3ee1c552, v71
	v_add_f32_e32 v101, v64, v102
	v_fmac_f32_e32 v97, 0x3ee1c552, v66
	v_fmac_f32_e32 v99, 0x3ee1c552, v71
	;; [unrolled: 1-line block ×4, first 2 shown]
	v_add_f32_e32 v64, v100, v77
	v_sub_f32_e32 v66, v69, v81
	v_add_f32_e32 v69, v81, v69
	v_sub_f32_e32 v71, v77, v100
	;; [unrolled: 2-line block ×3, first 2 shown]
	v_add_f32_e32 v82, v80, v96
	v_add_f32_e32 v72, v72, v70
	;; [unrolled: 1-line block ×4, first 2 shown]
	v_sub_f32_e32 v85, v85, v87
	v_add_f32_e32 v87, v86, v84
	v_sub_f32_e32 v84, v84, v86
	v_add_f32_e32 v86, v82, v77
	v_add_f32_e32 v103, v65, v70
	v_sub_f32_e32 v65, v72, v95
	v_add_f32_e32 v72, v95, v72
	v_add_f32_e32 v95, v83, v94
	v_sub_f32_e32 v83, v94, v83
	v_add_f32_e32 v94, v88, v78
	v_add_f32_e32 v86, v87, v86
	v_sub_f32_e32 v80, v80, v96
	v_sub_f32_e32 v96, v82, v77
	;; [unrolled: 1-line block ×4, first 2 shown]
	v_add_f32_e32 v87, v95, v94
	v_add_f32_e32 v48, v48, v86
	;; [unrolled: 1-line block ×3, first 2 shown]
	v_sub_f32_e32 v63, v103, v97
	v_add_f32_e32 v67, v73, v74
	v_sub_f32_e32 v70, v74, v73
	v_sub_f32_e32 v73, v101, v99
	v_add_f32_e32 v74, v97, v103
	v_sub_f32_e32 v79, v79, v98
	v_sub_f32_e32 v97, v88, v78
	;; [unrolled: 1-line block ×4, first 2 shown]
	v_add_f32_e32 v98, v84, v80
	v_add_f32_e32 v99, v83, v85
	v_sub_f32_e32 v100, v84, v80
	v_sub_f32_e32 v101, v83, v85
	v_add_f32_e32 v49, v49, v87
	v_mov_b32_e32 v102, v48
	v_sub_f32_e32 v84, v81, v84
	v_sub_f32_e32 v83, v79, v83
	;; [unrolled: 1-line block ×4, first 2 shown]
	v_add_f32_e32 v81, v98, v81
	v_add_f32_e32 v79, v99, v79
	v_mul_f32_e32 v77, 0x3f4a47b2, v77
	v_mul_f32_e32 v78, 0x3f4a47b2, v78
	;; [unrolled: 1-line block ×6, first 2 shown]
	v_fmac_f32_e32 v102, 0xbf955555, v86
	v_mov_b32_e32 v86, v49
	ds_write2_b64 v174, v[44:45], v[50:51] offset1:13
	ds_write2_b64 v174, v[52:53], v[54:55] offset0:26 offset1:39
	ds_write2_b64 v174, v[56:57], v[58:59] offset0:52 offset1:65
	ds_write_b64 v174, v[60:61] offset:624
	v_mad_u64_u32 v[56:57], s[2:3], v172, 48, s[4:5]
	v_mul_f32_e32 v100, 0x3f5ff5aa, v80
	v_mul_f32_e32 v101, 0x3f5ff5aa, v85
	v_fmac_f32_e32 v86, 0xbf955555, v87
	v_fma_f32 v87, v96, s14, -v94
	v_fma_f32 v94, v97, s14, -v95
	;; [unrolled: 1-line block ×3, first 2 shown]
	v_fmac_f32_e32 v77, 0x3d64c772, v82
	v_fma_f32 v82, v97, s13, -v78
	v_fmac_f32_e32 v78, 0x3d64c772, v88
	v_fma_f32 v88, v80, s12, -v98
	;; [unrolled: 2-line block ×3, first 2 shown]
	v_fmac_f32_e32 v99, 0x3eae86e6, v83
	v_mul_u32_u24_e32 v44, 0x5b, v90
	v_fma_f32 v96, v84, s16, -v100
	v_fma_f32 v97, v83, s16, -v101
	v_add_f32_e32 v100, v77, v102
	v_add_f32_e32 v101, v78, v86
	v_fmac_f32_e32 v98, 0x3ee1c552, v81
	v_fmac_f32_e32 v99, 0x3ee1c552, v79
	v_add_lshl_u32 v175, v44, v91, 3
	v_mad_legacy_u16 v44, v92, s19, v93
	v_add_f32_e32 v83, v87, v102
	v_add_f32_e32 v84, v94, v86
	;; [unrolled: 1-line block ×4, first 2 shown]
	v_fmac_f32_e32 v88, 0x3ee1c552, v81
	v_fmac_f32_e32 v85, 0x3ee1c552, v79
	;; [unrolled: 1-line block ×4, first 2 shown]
	v_add_f32_e32 v77, v99, v100
	v_sub_f32_e32 v78, v101, v98
	v_lshlrev_b32_e32 v176, 3, v44
	v_add_f32_e32 v79, v97, v87
	v_sub_f32_e32 v80, v86, v96
	v_sub_f32_e32 v81, v83, v85
	v_add_f32_e32 v82, v88, v84
	v_add_f32_e32 v83, v85, v83
	v_sub_f32_e32 v84, v84, v88
	v_sub_f32_e32 v85, v87, v97
	v_add_f32_e32 v86, v96, v86
	v_sub_f32_e32 v87, v100, v99
	v_add_f32_e32 v88, v98, v101
	ds_write2_b64 v175, v[46:47], v[62:63] offset1:13
	ds_write2_b64 v175, v[64:65], v[66:67] offset0:26 offset1:39
	ds_write2_b64 v175, v[69:70], v[71:72] offset0:52 offset1:65
	ds_write_b64 v175, v[73:74] offset:624
	ds_write2_b64 v176, v[48:49], v[77:78] offset1:13
	ds_write2_b64 v176, v[79:80], v[81:82] offset0:26 offset1:39
	ds_write2_b64 v176, v[83:84], v[85:86] offset0:52 offset1:65
	ds_write_b64 v176, v[87:88] offset:624
	s_waitcnt lgkmcnt(0)
	s_barrier
	global_load_dwordx4 v[52:55], v[56:57], off offset:624
	global_load_dwordx4 v[48:51], v[56:57], off offset:640
	global_load_dwordx4 v[44:47], v[56:57], off offset:656
	s_movk_i32 s2, 0x6817
	v_mul_u32_u24_sdwa v56, v76, s2 dst_sel:DWORD dst_unused:UNUSED_PAD src0_sel:WORD_0 src1_sel:DWORD
	v_sub_u16_sdwa v57, v76, v56 dst_sel:DWORD dst_unused:UNUSED_PAD src0_sel:DWORD src1_sel:WORD_1
	v_lshrrev_b16_e32 v57, 1, v57
	v_add_u16_sdwa v56, v57, v56 dst_sel:DWORD dst_unused:UNUSED_PAD src0_sel:DWORD src1_sel:WORD_1
	v_lshrrev_b16_e32 v56, 6, v56
	v_mul_lo_u16_e32 v56, 0x5b, v56
	v_sub_u16_e32 v75, v76, v56
	v_mul_lo_u16_e32 v56, 48, v75
	v_mov_b32_e32 v92, s5
	v_add_co_u32_e64 v69, s[2:3], s4, v56
	v_addc_co_u32_e64 v70, s[2:3], 0, v92, s[2:3]
	global_load_dwordx4 v[64:67], v[69:70], off offset:624
	global_load_dwordx4 v[60:63], v[69:70], off offset:640
	;; [unrolled: 1-line block ×3, first 2 shown]
	ds_read2_b64 v[69:72], v171 offset1:91
	ds_read2_b64 v[77:80], v118 offset0:54 offset1:145
	ds_read2_b64 v[81:84], v114 offset0:34 offset1:125
	;; [unrolled: 1-line block ×9, first 2 shown]
	ds_read_b64 v[73:74], v171 offset:14560
	v_lshlrev_b32_e32 v178, 3, v75
	s_waitcnt vmcnt(0) lgkmcnt(0)
	s_barrier
	v_lshlrev_b32_e32 v93, 4, v172
	s_movk_i32 s5, 0x1000
	v_lshlrev_b32_e32 v76, 4, v76
	v_mul_f32_e32 v89, v80, v53
	v_fma_f32 v89, v79, v52, -v89
	v_mul_f32_e32 v79, v79, v53
	v_fmac_f32_e32 v79, v80, v52
	v_mul_f32_e32 v80, v82, v55
	v_fma_f32 v80, v81, v54, -v80
	v_mul_f32_e32 v81, v81, v55
	v_fmac_f32_e32 v81, v82, v54
	;; [unrolled: 4-line block ×3, first 2 shown]
	v_mul_f32_e32 v88, v95, v51
	v_mul_f32_e32 v91, v101, v45
	v_fma_f32 v88, v94, v50, -v88
	v_mul_f32_e32 v90, v94, v51
	v_fma_f32 v91, v100, v44, -v91
	v_mul_f32_e32 v94, v100, v45
	v_mul_f32_e32 v100, v102, v47
	v_fmac_f32_e32 v90, v95, v50
	v_fmac_f32_e32 v94, v101, v44
	v_mul_f32_e32 v95, v103, v47
	v_fmac_f32_e32 v100, v103, v46
	v_mul_f32_e32 v101, v107, v53
	v_mul_f32_e32 v103, v84, v55
	v_fma_f32 v95, v102, v46, -v95
	v_fma_f32 v101, v106, v52, -v101
	v_mul_f32_e32 v102, v106, v53
	v_fma_f32 v103, v83, v54, -v103
	v_mul_f32_e32 v106, v83, v55
	v_mul_f32_e32 v83, v124, v49
	v_fmac_f32_e32 v102, v107, v52
	v_fma_f32 v107, v123, v48, -v83
	v_mul_f32_e32 v83, v97, v51
	v_fma_f32 v111, v96, v50, -v83
	v_mul_f32_e32 v96, v96, v51
	v_mul_f32_e32 v83, v132, v45
	v_fmac_f32_e32 v96, v97, v50
	v_fma_f32 v97, v131, v44, -v83
	v_mul_f32_e32 v83, v105, v47
	v_fma_f32 v120, v104, v46, -v83
	v_mul_f32_e32 v104, v104, v47
	v_mul_f32_e32 v83, v109, v65
	v_fmac_f32_e32 v104, v105, v46
	v_fma_f32 v105, v108, v64, -v83
	v_mul_f32_e32 v108, v108, v65
	v_mul_f32_e32 v83, v86, v67
	v_fmac_f32_e32 v108, v109, v64
	v_fma_f32 v109, v85, v66, -v83
	v_mul_f32_e32 v83, v126, v61
	v_mul_f32_e32 v110, v123, v49
	v_fma_f32 v123, v125, v60, -v83
	v_mul_f32_e32 v83, v99, v63
	v_fmac_f32_e32 v110, v124, v48
	v_mul_f32_e32 v124, v125, v61
	v_fma_f32 v125, v98, v62, -v83
	v_mul_f32_e32 v83, v134, v57
	v_fma_f32 v127, v133, v56, -v83
	v_mul_f32_e32 v83, v74, v59
	v_fmac_f32_e32 v106, v84, v54
	v_mul_f32_e32 v119, v131, v45
	v_mul_f32_e32 v121, v85, v67
	v_fma_f32 v129, v73, v58, -v83
	v_mul_f32_e32 v131, v73, v59
	v_add_f32_e32 v73, v89, v95
	v_add_f32_e32 v84, v80, v91
	v_fmac_f32_e32 v121, v86, v66
	v_fmac_f32_e32 v131, v74, v58
	v_add_f32_e32 v74, v79, v100
	v_add_f32_e32 v85, v81, v94
	v_add_f32_e32 v86, v82, v88
	v_sub_f32_e32 v82, v88, v82
	v_add_f32_e32 v88, v84, v73
	v_sub_f32_e32 v83, v89, v95
	v_sub_f32_e32 v80, v80, v91
	v_add_f32_e32 v89, v87, v90
	v_sub_f32_e32 v87, v90, v87
	v_add_f32_e32 v90, v85, v74
	v_sub_f32_e32 v91, v84, v73
	v_sub_f32_e32 v73, v73, v86
	;; [unrolled: 1-line block ×3, first 2 shown]
	v_add_f32_e32 v86, v86, v88
	v_fmac_f32_e32 v124, v126, v60
	v_mul_f32_e32 v126, v98, v63
	v_sub_f32_e32 v81, v81, v94
	v_add_f32_e32 v88, v89, v90
	v_add_f32_e32 v69, v69, v86
	v_fmac_f32_e32 v119, v132, v44
	v_fmac_f32_e32 v126, v99, v62
	v_sub_f32_e32 v79, v79, v100
	v_sub_f32_e32 v94, v85, v74
	;; [unrolled: 1-line block ×4, first 2 shown]
	v_add_f32_e32 v95, v82, v80
	v_add_f32_e32 v98, v87, v81
	v_sub_f32_e32 v99, v82, v80
	v_sub_f32_e32 v100, v87, v81
	v_add_f32_e32 v70, v70, v88
	v_mov_b32_e32 v132, v69
	v_sub_f32_e32 v82, v83, v82
	v_sub_f32_e32 v87, v79, v87
	;; [unrolled: 1-line block ×4, first 2 shown]
	v_add_f32_e32 v83, v95, v83
	v_add_f32_e32 v79, v98, v79
	v_mul_f32_e32 v73, 0x3f4a47b2, v73
	v_mul_f32_e32 v74, 0x3f4a47b2, v74
	;; [unrolled: 1-line block ×6, first 2 shown]
	v_fmac_f32_e32 v132, 0xbf955555, v86
	v_mov_b32_e32 v86, v70
	v_mul_f32_e32 v99, 0x3f5ff5aa, v80
	v_mul_f32_e32 v100, 0x3f5ff5aa, v81
	v_fmac_f32_e32 v86, 0xbf955555, v88
	v_fma_f32 v88, v91, s14, -v89
	v_fma_f32 v89, v94, s14, -v90
	;; [unrolled: 1-line block ×3, first 2 shown]
	v_fmac_f32_e32 v73, 0x3d64c772, v84
	v_fma_f32 v84, v94, s13, -v74
	v_fmac_f32_e32 v74, 0x3d64c772, v85
	v_fma_f32 v85, v80, s12, -v95
	;; [unrolled: 2-line block ×4, first 2 shown]
	v_fma_f32 v87, v87, s16, -v100
	v_add_f32_e32 v100, v74, v86
	v_add_f32_e32 v88, v88, v132
	;; [unrolled: 1-line block ×3, first 2 shown]
	v_fmac_f32_e32 v95, 0x3ee1c552, v83
	v_fmac_f32_e32 v85, 0x3ee1c552, v83
	;; [unrolled: 1-line block ×3, first 2 shown]
	v_add_f32_e32 v99, v73, v132
	v_add_f32_e32 v90, v90, v132
	;; [unrolled: 1-line block ×3, first 2 shown]
	v_fmac_f32_e32 v98, 0x3ee1c552, v79
	v_fmac_f32_e32 v94, 0x3ee1c552, v83
	;; [unrolled: 1-line block ×3, first 2 shown]
	v_sub_f32_e32 v74, v100, v95
	v_sub_f32_e32 v81, v88, v91
	v_add_f32_e32 v82, v85, v89
	v_add_f32_e32 v83, v91, v88
	v_sub_f32_e32 v84, v89, v85
	v_add_f32_e32 v88, v95, v100
	v_add_f32_e32 v89, v101, v120
	v_add_f32_e32 v95, v103, v97
	v_add_f32_e32 v73, v98, v99
	v_add_f32_e32 v79, v87, v90
	v_sub_f32_e32 v85, v90, v87
	v_sub_f32_e32 v87, v99, v98
	v_add_f32_e32 v90, v102, v104
	v_add_f32_e32 v98, v106, v119
	v_sub_f32_e32 v97, v103, v97
	v_add_f32_e32 v100, v107, v111
	v_add_f32_e32 v103, v95, v89
	v_sub_f32_e32 v80, v86, v94
	v_add_f32_e32 v86, v94, v86
	v_sub_f32_e32 v91, v101, v120
	v_sub_f32_e32 v94, v102, v104
	;; [unrolled: 1-line block ×3, first 2 shown]
	v_add_f32_e32 v101, v110, v96
	v_add_f32_e32 v104, v98, v90
	v_sub_f32_e32 v106, v95, v89
	v_sub_f32_e32 v89, v89, v100
	;; [unrolled: 1-line block ×3, first 2 shown]
	v_add_f32_e32 v100, v100, v103
	v_sub_f32_e32 v102, v111, v107
	v_sub_f32_e32 v96, v96, v110
	v_sub_f32_e32 v107, v98, v90
	v_sub_f32_e32 v90, v90, v101
	v_sub_f32_e32 v98, v101, v98
	v_add_f32_e32 v101, v101, v104
	v_add_f32_e32 v71, v71, v100
	v_add_f32_e32 v111, v96, v99
	v_sub_f32_e32 v120, v96, v99
	v_sub_f32_e32 v99, v99, v94
	v_add_f32_e32 v72, v72, v101
	v_mov_b32_e32 v132, v71
	v_add_f32_e32 v110, v102, v97
	v_sub_f32_e32 v119, v102, v97
	v_sub_f32_e32 v96, v94, v96
	;; [unrolled: 1-line block ×3, first 2 shown]
	v_add_f32_e32 v94, v111, v94
	v_mul_f32_e32 v89, 0x3f4a47b2, v89
	v_mul_f32_e32 v90, 0x3f4a47b2, v90
	v_mul_f32_e32 v103, 0x3d64c772, v95
	v_mul_f32_e32 v104, 0x3d64c772, v98
	v_mul_f32_e32 v111, 0xbf08b237, v120
	v_mul_f32_e32 v120, 0x3f5ff5aa, v99
	v_fmac_f32_e32 v132, 0xbf955555, v100
	v_mov_b32_e32 v100, v72
	v_sub_f32_e32 v102, v91, v102
	v_add_f32_e32 v91, v110, v91
	v_mul_f32_e32 v110, 0xbf08b237, v119
	v_mul_f32_e32 v119, 0x3f5ff5aa, v97
	v_fmac_f32_e32 v100, 0xbf955555, v101
	v_fma_f32 v101, v106, s14, -v103
	v_fma_f32 v103, v107, s14, -v104
	;; [unrolled: 1-line block ×3, first 2 shown]
	v_fmac_f32_e32 v89, 0x3d64c772, v95
	v_fma_f32 v95, v107, s13, -v90
	v_fma_f32 v107, v96, s16, -v120
	v_mul_f32_e32 v128, v133, v57
	v_fmac_f32_e32 v90, 0x3d64c772, v98
	v_fma_f32 v106, v97, s12, -v110
	v_fmac_f32_e32 v110, 0x3eae86e6, v102
	v_fma_f32 v98, v99, s12, -v111
	;; [unrolled: 2-line block ×3, first 2 shown]
	v_add_f32_e32 v99, v101, v132
	v_add_f32_e32 v101, v103, v100
	;; [unrolled: 1-line block ×3, first 2 shown]
	v_fmac_f32_e32 v107, 0x3ee1c552, v94
	v_fmac_f32_e32 v128, v134, v56
	v_add_f32_e32 v119, v89, v132
	v_add_f32_e32 v120, v90, v100
	;; [unrolled: 1-line block ×3, first 2 shown]
	v_fmac_f32_e32 v110, 0x3ee1c552, v91
	v_fmac_f32_e32 v111, 0x3ee1c552, v94
	;; [unrolled: 1-line block ×5, first 2 shown]
	v_add_f32_e32 v94, v107, v103
	v_sub_f32_e32 v100, v103, v107
	v_add_f32_e32 v91, v105, v129
	v_add_f32_e32 v107, v109, v127
	;; [unrolled: 1-line block ×3, first 2 shown]
	v_sub_f32_e32 v90, v120, v110
	v_sub_f32_e32 v95, v104, v102
	;; [unrolled: 1-line block ×3, first 2 shown]
	v_add_f32_e32 v97, v106, v101
	v_add_f32_e32 v98, v98, v99
	v_sub_f32_e32 v99, v101, v106
	v_add_f32_e32 v101, v102, v104
	v_sub_f32_e32 v102, v119, v111
	v_add_f32_e32 v103, v110, v120
	v_add_f32_e32 v104, v108, v131
	v_sub_f32_e32 v106, v108, v131
	v_add_f32_e32 v108, v121, v128
	;; [unrolled: 3-line block ×3, first 2 shown]
	v_sub_f32_e32 v110, v121, v128
	v_add_f32_e32 v119, v124, v126
	v_sub_f32_e32 v121, v126, v124
	v_add_f32_e32 v124, v108, v104
	v_sub_f32_e32 v125, v107, v91
	v_sub_f32_e32 v91, v91, v111
	;; [unrolled: 1-line block ×3, first 2 shown]
	v_add_f32_e32 v111, v111, v123
	v_sub_f32_e32 v109, v109, v127
	v_sub_f32_e32 v126, v108, v104
	;; [unrolled: 1-line block ×4, first 2 shown]
	v_add_f32_e32 v119, v119, v124
	v_add_f32_e32 v77, v77, v111
	v_sub_f32_e32 v105, v105, v129
	v_add_f32_e32 v127, v120, v109
	v_add_f32_e32 v128, v121, v110
	v_sub_f32_e32 v129, v120, v109
	v_sub_f32_e32 v131, v121, v110
	v_add_f32_e32 v78, v78, v119
	v_mov_b32_e32 v132, v77
	v_sub_f32_e32 v120, v105, v120
	v_sub_f32_e32 v121, v106, v121
	;; [unrolled: 1-line block ×4, first 2 shown]
	v_add_f32_e32 v105, v127, v105
	v_add_f32_e32 v106, v128, v106
	v_mul_f32_e32 v91, 0x3f4a47b2, v91
	v_mul_f32_e32 v104, 0x3f4a47b2, v104
	;; [unrolled: 1-line block ×6, first 2 shown]
	v_fmac_f32_e32 v132, 0xbf955555, v111
	v_mov_b32_e32 v111, v78
	v_mul_f32_e32 v129, 0x3f5ff5aa, v109
	v_mul_f32_e32 v131, 0x3f5ff5aa, v110
	v_fmac_f32_e32 v111, 0xbf955555, v119
	v_fma_f32 v119, v125, s14, -v123
	v_fma_f32 v123, v126, s14, -v124
	v_fma_f32 v124, v125, s13, -v91
	v_fmac_f32_e32 v91, 0x3d64c772, v107
	v_fma_f32 v107, v126, s13, -v104
	v_fmac_f32_e32 v104, 0x3d64c772, v108
	v_fma_f32 v125, v109, s12, -v127
	;; [unrolled: 2-line block ×4, first 2 shown]
	v_fma_f32 v121, v121, s16, -v131
	v_add_f32_e32 v91, v91, v132
	v_add_f32_e32 v126, v104, v111
	v_fmac_f32_e32 v127, 0x3ee1c552, v105
	v_fmac_f32_e32 v128, 0x3ee1c552, v106
	v_add_f32_e32 v119, v119, v132
	v_add_f32_e32 v123, v123, v111
	;; [unrolled: 1-line block ×4, first 2 shown]
	v_fmac_f32_e32 v125, 0x3ee1c552, v105
	v_fmac_f32_e32 v110, 0x3ee1c552, v106
	;; [unrolled: 1-line block ×4, first 2 shown]
	v_add_f32_e32 v104, v128, v91
	v_sub_f32_e32 v105, v126, v127
	ds_write2_b64 v171, v[69:70], v[73:74] offset1:91
	ds_write2_b64 v118, v[79:80], v[81:82] offset0:54 offset1:145
	ds_write2_b64 v115, v[83:84], v[85:86] offset0:108 offset1:199
	;; [unrolled: 1-line block ×6, first 2 shown]
	v_add_u32_e32 v69, 0x2400, v178
	v_add_f32_e32 v106, v121, v124
	v_sub_f32_e32 v107, v129, v120
	v_sub_f32_e32 v108, v119, v110
	v_add_f32_e32 v109, v125, v123
	ds_write2_b64 v69, v[77:78], v[104:105] offset0:122 offset1:213
	v_add_u32_e32 v69, 0x2c00, v178
	v_add_f32_e32 v110, v110, v119
	v_sub_f32_e32 v111, v123, v125
	v_sub_f32_e32 v119, v124, v121
	v_add_f32_e32 v120, v120, v129
	ds_write2_b64 v69, v[106:107], v[108:109] offset0:48 offset1:139
	v_add_u32_e32 v69, 0x3000, v178
	v_sub_f32_e32 v123, v91, v128
	v_add_f32_e32 v124, v127, v126
	ds_write2_b64 v69, v[110:111], v[119:120] offset0:102 offset1:193
	ds_write_b64 v178, v[123:124] offset:14560
	v_add_co_u32_e64 v69, s[2:3], s4, v93
	v_addc_co_u32_e64 v70, s[2:3], 0, v92, s[2:3]
	v_add_co_u32_e64 v69, s[2:3], s5, v69
	v_addc_co_u32_e64 v70, s[2:3], 0, v70, s[2:3]
	;; [unrolled: 2-line block ×4, first 2 shown]
	v_add_co_u32_e64 v76, s[2:3], s4, v76
	s_waitcnt lgkmcnt(0)
	s_barrier
	global_load_dwordx4 v[72:75], v[69:70], off offset:896
	s_nop 0
	global_load_dwordx4 v[68:71], v[77:78], off offset:896
	v_addc_co_u32_e64 v77, s[2:3], 0, v92, s[2:3]
	v_add_co_u32_e64 v76, s[2:3], s5, v76
	v_addc_co_u32_e64 v77, s[2:3], 0, v77, s[2:3]
	v_add_u32_e32 v80, 0x1110, v93
	v_add_co_u32_e64 v80, s[2:3], s4, v80
	v_addc_co_u32_e64 v81, s[2:3], 0, v92, s[2:3]
	v_add_co_u32_e64 v80, s[2:3], s5, v80
	v_addc_co_u32_e64 v81, s[2:3], 0, v81, s[2:3]
	v_add_u32_e32 v84, 0x16c0, v93
	v_add_co_u32_e64 v84, s[2:3], s4, v84
	;; [unrolled: 5-line block ×3, first 2 shown]
	v_addc_co_u32_e64 v89, s[2:3], 0, v92, s[2:3]
	global_load_dwordx4 v[76:79], v[76:77], off offset:896
	v_add_co_u32_e64 v88, s[2:3], s5, v88
	global_load_dwordx4 v[80:83], v[80:81], off offset:896
	v_addc_co_u32_e64 v89, s[2:3], 0, v89, s[2:3]
	v_add_u32_e32 v93, 0x2220, v93
	global_load_dwordx4 v[84:87], v[84:85], off offset:896
	v_add_co_u32_e64 v93, s[2:3], s4, v93
	global_load_dwordx4 v[88:91], v[88:89], off offset:896
	v_addc_co_u32_e64 v94, s[2:3], 0, v92, s[2:3]
	v_add_co_u32_e64 v92, s[2:3], s5, v93
	v_addc_co_u32_e64 v93, s[2:3], 0, v94, s[2:3]
	global_load_dwordx4 v[92:95], v[92:93], off offset:896
	v_mov_b32_e32 v96, s15
	v_addc_co_u32_e32 v121, vcc, 0, v96, vcc
	ds_read2_b64 v[123:126], v171 offset1:91
	ds_read2_b64 v[100:103], v114 offset0:34 offset1:125
	ds_read2_b64 v[96:99], v122 offset0:122 offset1:213
	;; [unrolled: 1-line block ×9, first 2 shown]
	ds_read_b64 v[119:120], v171 offset:14560
	s_movk_i32 s4, 0x3000
	s_movk_i32 s2, 0x3bb8
	;; [unrolled: 1-line block ×3, first 2 shown]
	s_waitcnt vmcnt(6) lgkmcnt(9)
	v_mul_f32_e32 v127, v103, v73
	v_fma_f32 v128, v102, v72, -v127
	v_mul_f32_e32 v102, v102, v73
	v_fmac_f32_e32 v102, v103, v72
	s_waitcnt lgkmcnt(8)
	v_mul_f32_e32 v103, v97, v75
	v_fma_f32 v103, v96, v74, -v103
	v_mul_f32_e32 v96, v96, v75
	v_fmac_f32_e32 v96, v97, v74
	s_waitcnt vmcnt(5) lgkmcnt(7)
	v_mul_f32_e32 v97, v109, v69
	v_fma_f32 v97, v108, v68, -v97
	v_mul_f32_e32 v108, v108, v69
	v_fmac_f32_e32 v108, v109, v68
	v_mul_f32_e32 v109, v99, v71
	v_fma_f32 v109, v98, v70, -v109
	v_mul_f32_e32 v98, v98, v71
	v_fmac_f32_e32 v98, v99, v70
	s_waitcnt vmcnt(4)
	v_mul_f32_e32 v99, v111, v77
	v_fma_f32 v99, v110, v76, -v99
	v_mul_f32_e32 v110, v110, v77
	s_waitcnt vmcnt(3) lgkmcnt(4)
	v_mul_f32_e32 v127, v184, v81
	v_fma_f32 v137, v183, v80, -v127
	v_mul_f32_e32 v127, v182, v83
	v_fma_f32 v196, v181, v82, -v127
	s_waitcnt vmcnt(2)
	v_mul_f32_e32 v127, v186, v85
	v_fma_f32 v198, v185, v84, -v127
	s_waitcnt lgkmcnt(2)
	v_mul_f32_e32 v127, v188, v87
	v_fma_f32 v200, v187, v86, -v127
	s_waitcnt vmcnt(1) lgkmcnt(1)
	v_mul_f32_e32 v127, v192, v89
	v_fma_f32 v202, v191, v88, -v127
	v_mul_f32_e32 v191, v191, v89
	v_mul_f32_e32 v127, v190, v91
	v_fmac_f32_e32 v191, v192, v88
	v_fma_f32 v192, v189, v90, -v127
	v_mul_f32_e32 v189, v189, v91
	s_waitcnt vmcnt(0)
	v_mul_f32_e32 v127, v194, v93
	s_waitcnt lgkmcnt(0)
	v_mul_f32_e32 v203, v119, v95
	v_fmac_f32_e32 v189, v190, v90
	v_fma_f32 v190, v193, v92, -v127
	v_mul_f32_e32 v193, v193, v93
	v_mul_f32_e32 v127, v120, v95
	v_fmac_f32_e32 v203, v120, v94
	v_add_f32_e32 v120, v128, v103
	v_fmac_f32_e32 v193, v194, v92
	v_fma_f32 v194, v119, v94, -v127
	v_add_f32_e32 v119, v123, v128
	v_fma_f32 v123, -0.5, v120, v123
	v_sub_f32_e32 v120, v102, v96
	v_mov_b32_e32 v127, v123
	v_fmac_f32_e32 v127, 0x3f5db3d7, v120
	v_fmac_f32_e32 v123, 0xbf5db3d7, v120
	v_add_f32_e32 v120, v124, v102
	v_add_f32_e32 v120, v120, v96
	v_add_f32_e32 v96, v102, v96
	v_fma_f32 v124, -0.5, v96, v124
	v_sub_f32_e32 v96, v128, v103
	v_mov_b32_e32 v128, v124
	v_fmac_f32_e32 v128, 0xbf5db3d7, v96
	v_fmac_f32_e32 v124, 0x3f5db3d7, v96
	v_add_f32_e32 v96, v125, v97
	v_add_f32_e32 v135, v96, v109
	;; [unrolled: 8-line block ×3, first 2 shown]
	v_add_f32_e32 v96, v108, v98
	v_fmac_f32_e32 v126, -0.5, v96
	v_fmac_f32_e32 v110, v111, v76
	v_mul_f32_e32 v111, v180, v79
	v_sub_f32_e32 v96, v97, v109
	v_mov_b32_e32 v170, v126
	v_fma_f32 v111, v179, v78, -v111
	v_fmac_f32_e32 v170, 0xbf5db3d7, v96
	v_fmac_f32_e32 v126, 0x3f5db3d7, v96
	v_add_f32_e32 v96, v131, v99
	v_mul_f32_e32 v129, v179, v79
	v_add_f32_e32 v179, v96, v111
	v_add_f32_e32 v96, v99, v111
	v_fmac_f32_e32 v129, v180, v78
	v_fma_f32 v131, -0.5, v96, v131
	v_mul_f32_e32 v197, v181, v83
	v_sub_f32_e32 v96, v110, v129
	v_mov_b32_e32 v181, v131
	v_fmac_f32_e32 v181, 0x3f5db3d7, v96
	v_fmac_f32_e32 v131, 0xbf5db3d7, v96
	v_add_f32_e32 v96, v132, v110
	v_add_f32_e32 v180, v96, v129
	;; [unrolled: 1-line block ×3, first 2 shown]
	v_fma_f32 v132, -0.5, v96, v132
	v_fmac_f32_e32 v197, v182, v82
	v_sub_f32_e32 v96, v99, v111
	v_mov_b32_e32 v182, v132
	v_fmac_f32_e32 v182, 0xbf5db3d7, v96
	v_fmac_f32_e32 v132, 0x3f5db3d7, v96
	v_add_f32_e32 v96, v133, v137
	v_mul_f32_e32 v195, v183, v81
	v_add_f32_e32 v183, v96, v196
	v_add_f32_e32 v96, v137, v196
	v_fmac_f32_e32 v195, v184, v80
	v_fma_f32 v133, -0.5, v96, v133
	v_mul_f32_e32 v199, v185, v85
	v_sub_f32_e32 v96, v195, v197
	v_mov_b32_e32 v185, v133
	v_fmac_f32_e32 v185, 0x3f5db3d7, v96
	v_fmac_f32_e32 v133, 0xbf5db3d7, v96
	v_add_f32_e32 v96, v134, v195
	v_add_f32_e32 v184, v96, v197
	;; [unrolled: 1-line block ×3, first 2 shown]
	v_fmac_f32_e32 v134, -0.5, v96
	v_fmac_f32_e32 v199, v186, v84
	v_sub_f32_e32 v96, v137, v196
	v_mov_b32_e32 v186, v134
	v_fmac_f32_e32 v186, 0xbf5db3d7, v96
	v_fmac_f32_e32 v134, 0x3f5db3d7, v96
	v_add_f32_e32 v96, v104, v198
	v_mul_f32_e32 v201, v187, v87
	v_add_f32_e32 v187, v96, v200
	v_add_f32_e32 v96, v198, v200
	v_fmac_f32_e32 v201, v188, v86
	v_fma_f32 v98, -0.5, v96, v104
	v_sub_f32_e32 v97, v199, v201
	v_mov_b32_e32 v96, v98
	v_fmac_f32_e32 v96, 0x3f5db3d7, v97
	v_fmac_f32_e32 v98, 0xbf5db3d7, v97
	v_add_f32_e32 v97, v105, v199
	v_add_f32_e32 v188, v97, v201
	;; [unrolled: 1-line block ×3, first 2 shown]
	v_fma_f32 v99, -0.5, v97, v105
	v_add_f32_e32 v119, v119, v103
	v_sub_f32_e32 v102, v198, v200
	v_mov_b32_e32 v97, v99
	v_add_f32_e32 v103, v202, v192
	v_fmac_f32_e32 v97, 0xbf5db3d7, v102
	v_fmac_f32_e32 v99, 0x3f5db3d7, v102
	v_add_f32_e32 v102, v106, v202
	v_fma_f32 v106, -0.5, v103, v106
	v_sub_f32_e32 v103, v191, v189
	v_mov_b32_e32 v104, v106
	v_add_f32_e32 v105, v191, v189
	v_fmac_f32_e32 v104, 0x3f5db3d7, v103
	v_fmac_f32_e32 v106, 0xbf5db3d7, v103
	v_add_f32_e32 v103, v107, v191
	v_fmac_f32_e32 v107, -0.5, v105
	v_sub_f32_e32 v108, v202, v192
	v_mov_b32_e32 v105, v107
	v_add_f32_e32 v109, v190, v194
	v_fmac_f32_e32 v105, 0xbf5db3d7, v108
	v_fmac_f32_e32 v107, 0x3f5db3d7, v108
	v_add_f32_e32 v108, v100, v190
	v_fma_f32 v100, -0.5, v109, v100
	v_sub_f32_e32 v109, v193, v203
	v_mov_b32_e32 v110, v100
	v_add_f32_e32 v111, v193, v203
	v_fmac_f32_e32 v110, 0x3f5db3d7, v109
	v_fmac_f32_e32 v100, 0xbf5db3d7, v109
	v_add_f32_e32 v109, v101, v193
	v_fmac_f32_e32 v101, -0.5, v111
	v_sub_f32_e32 v129, v190, v194
	v_mov_b32_e32 v111, v101
	ds_write_b64 v171, v[127:128] offset:5096
	ds_write_b64 v171, v[123:124] offset:10192
	ds_write2_b64 v171, v[119:120], v[135:136] offset1:91
	ds_write2_b64 v117, v[169:170], v[181:182] offset0:88 offset1:179
	v_add_u32_e32 v119, 0x2800, v171
	v_add_f32_e32 v102, v102, v192
	v_add_f32_e32 v103, v103, v189
	;; [unrolled: 1-line block ×4, first 2 shown]
	v_fmac_f32_e32 v111, 0xbf5db3d7, v129
	v_fmac_f32_e32 v101, 0x3f5db3d7, v129
	ds_write2_b64 v119, v[125:126], v[131:132] offset0:85 offset1:176
	ds_write2_b64 v118, v[179:180], v[183:184] offset0:54 offset1:145
	;; [unrolled: 1-line block ×5, first 2 shown]
	ds_write_b64 v171, v[108:109] offset:4368
	ds_write2_b64 v112, v[104:105], v[110:111] offset0:68 offset1:159
	v_add_u32_e32 v112, 0x3400, v171
	ds_write2_b64 v112, v[106:107], v[100:101] offset0:65 offset1:156
	v_add_co_u32_e32 v112, vcc, s4, v138
	v_addc_co_u32_e32 v113, vcc, 0, v121, vcc
	s_waitcnt lgkmcnt(0)
	s_barrier
	global_load_dwordx2 v[123:124], v[112:113], off offset:3000
	v_add_co_u32_e32 v112, vcc, s2, v138
	v_addc_co_u32_e32 v113, vcc, 0, v121, vcc
	global_load_dwordx2 v[125:126], v[112:113], off offset:1176
	global_load_dwordx2 v[127:128], v[112:113], off offset:2352
	;; [unrolled: 1-line block ×3, first 2 shown]
	s_movk_i32 s2, 0x4000
	v_add_co_u32_e32 v118, vcc, s2, v138
	v_addc_co_u32_e32 v119, vcc, 0, v121, vcc
	global_load_dwordx2 v[133:134], v[118:119], off offset:3608
	s_movk_i32 s2, 0x5000
	v_add_co_u32_e32 v118, vcc, s2, v138
	v_addc_co_u32_e32 v119, vcc, 0, v121, vcc
	global_load_dwordx2 v[135:136], v[118:119], off offset:688
	global_load_dwordx2 v[169:170], v[118:119], off offset:1864
	;; [unrolled: 1-line block ×3, first 2 shown]
	s_movk_i32 s2, 0x6000
	v_add_co_u32_e32 v118, vcc, s2, v138
	v_addc_co_u32_e32 v119, vcc, 0, v121, vcc
	global_load_dwordx2 v[181:182], v[118:119], off offset:120
	global_load_dwordx2 v[183:184], v[118:119], off offset:1296
	;; [unrolled: 1-line block ×4, first 2 shown]
	v_add_co_u32_e32 v118, vcc, 0x7000, v138
	v_addc_co_u32_e32 v119, vcc, 0, v121, vcc
	global_load_dwordx2 v[189:190], v[118:119], off offset:728
	ds_read2_b64 v[118:121], v171 offset1:147
	s_waitcnt vmcnt(12) lgkmcnt(0)
	v_mul_f32_e32 v129, v119, v124
	v_mul_f32_e32 v192, v118, v124
	v_fma_f32 v191, v118, v123, -v129
	v_fmac_f32_e32 v192, v119, v123
	s_waitcnt vmcnt(11)
	v_mul_f32_e32 v118, v121, v126
	v_mul_f32_e32 v119, v120, v126
	v_fma_f32 v118, v120, v125, -v118
	v_fmac_f32_e32 v119, v121, v125
	ds_write2_b64 v171, v[191:192], v[118:119] offset1:147
	ds_read2_b64 v[118:121], v115 offset0:38 offset1:185
	s_waitcnt vmcnt(10) lgkmcnt(0)
	v_mul_f32_e32 v123, v119, v128
	v_fma_f32 v191, v118, v127, -v123
	ds_read2_b64 v[123:126], v114 offset0:76 offset1:223
	v_mul_f32_e32 v192, v118, v128
	v_fmac_f32_e32 v192, v119, v127
	s_waitcnt vmcnt(9)
	v_mul_f32_e32 v118, v121, v132
	v_mul_f32_e32 v119, v120, v132
	v_fma_f32 v118, v120, v131, -v118
	v_fmac_f32_e32 v119, v121, v131
	ds_write2_b64 v115, v[191:192], v[118:119] offset0:38 offset1:185
	s_waitcnt vmcnt(8) lgkmcnt(1)
	v_mul_f32_e32 v118, v124, v134
	v_fma_f32 v127, v123, v133, -v118
	v_mul_f32_e32 v128, v123, v134
	v_add_u32_e32 v123, 0x1a00, v171
	ds_read2_b64 v[118:121], v123 offset0:50 offset1:197
	v_fmac_f32_e32 v128, v124, v133
	s_waitcnt vmcnt(7)
	v_mul_f32_e32 v124, v126, v136
	v_fma_f32 v124, v125, v135, -v124
	v_mul_f32_e32 v125, v125, v136
	v_fmac_f32_e32 v125, v126, v135
	ds_write2_b64 v114, v[127:128], v[124:125] offset0:76 offset1:223
	s_waitcnt vmcnt(6) lgkmcnt(1)
	v_mul_f32_e32 v124, v119, v170
	v_fma_f32 v128, v118, v169, -v124
	ds_read2_b64 v[124:127], v122 offset0:24 offset1:171
	v_mul_f32_e32 v129, v118, v170
	v_fmac_f32_e32 v129, v119, v169
	s_waitcnt vmcnt(5)
	v_mul_f32_e32 v118, v121, v180
	v_mul_f32_e32 v119, v120, v180
	v_fma_f32 v118, v120, v179, -v118
	v_fmac_f32_e32 v119, v121, v179
	ds_write2_b64 v123, v[128:129], v[118:119] offset0:50 offset1:197
	s_waitcnt vmcnt(4) lgkmcnt(1)
	v_mul_f32_e32 v118, v125, v182
	v_fma_f32 v128, v124, v181, -v118
	ds_read2_b64 v[118:121], v130 offset0:62 offset1:209
	v_mul_f32_e32 v129, v124, v182
	v_fmac_f32_e32 v129, v125, v181
	s_waitcnt vmcnt(3)
	v_mul_f32_e32 v124, v127, v184
	v_mul_f32_e32 v125, v126, v184
	v_fma_f32 v124, v126, v183, -v124
	v_fmac_f32_e32 v125, v127, v183
	ds_write2_b64 v122, v[128:129], v[124:125] offset0:24 offset1:171
	s_waitcnt vmcnt(2) lgkmcnt(1)
	v_mul_f32_e32 v124, v119, v186
	v_mul_f32_e32 v125, v118, v186
	v_fma_f32 v124, v118, v185, -v124
	v_fmac_f32_e32 v125, v119, v185
	ds_read_b64 v[118:119], v171 offset:14112
	s_waitcnt vmcnt(1)
	v_mul_f32_e32 v126, v121, v188
	v_mul_f32_e32 v127, v120, v188
	v_fma_f32 v126, v120, v187, -v126
	v_fmac_f32_e32 v127, v121, v187
	s_waitcnt vmcnt(0) lgkmcnt(0)
	v_mul_f32_e32 v120, v119, v190
	v_mul_f32_e32 v121, v118, v190
	v_fma_f32 v120, v118, v189, -v120
	v_fmac_f32_e32 v121, v119, v189
	ds_write2_b64 v130, v[124:125], v[126:127] offset0:62 offset1:209
	ds_write_b64 v171, v[120:121] offset:14112
	s_and_saveexec_b64 s[2:3], s[0:1]
	s_cbranch_execz .LBB0_9
; %bb.8:
	v_add_co_u32_e32 v118, vcc, s5, v112
	v_addc_co_u32_e32 v119, vcc, 0, v113, vcc
	global_load_dwordx2 v[128:129], v[112:113], off offset:728
	global_load_dwordx2 v[135:136], v[112:113], off offset:1904
	;; [unrolled: 1-line block ×3, first 2 shown]
	v_add_co_u32_e32 v120, vcc, s12, v112
	global_load_dwordx2 v[191:192], v[118:119], off offset:160
	global_load_dwordx2 v[193:194], v[118:119], off offset:1336
	;; [unrolled: 1-line block ×3, first 2 shown]
	v_addc_co_u32_e32 v121, vcc, 0, v113, vcc
	global_load_dwordx2 v[197:198], v[118:119], off offset:3688
	global_load_dwordx2 v[199:200], v[120:121], off offset:768
	;; [unrolled: 1-line block ×4, first 2 shown]
	v_add_co_u32_e32 v112, vcc, s4, v112
	v_addc_co_u32_e32 v113, vcc, 0, v113, vcc
	global_load_dwordx2 v[205:206], v[112:113], off offset:200
	global_load_dwordx2 v[207:208], v[112:113], off offset:1376
	s_nop 0
	global_load_dwordx2 v[112:113], v[112:113], off offset:2552
	ds_read2_b64 v[118:121], v171 offset0:91 offset1:238
	v_add_u32_e32 v211, 0xc00, v171
	ds_read2_b64 v[124:127], v117 offset0:39 offset1:186
	v_add_u32_e32 v212, 0x1c00, v171
	v_add_u32_e32 v213, 0x2600, v171
	ds_read2_b64 v[131:134], v116 offset0:25 offset1:172
	ds_read2_b64 v[179:182], v211 offset0:1 offset1:148
	;; [unrolled: 1-line block ×4, first 2 shown]
	s_waitcnt vmcnt(12) lgkmcnt(5)
	v_mul_f32_e32 v209, v119, v129
	v_mul_f32_e32 v137, v118, v129
	s_waitcnt vmcnt(11)
	v_mul_f32_e32 v214, v121, v136
	v_mul_f32_e32 v129, v120, v136
	s_waitcnt vmcnt(10) lgkmcnt(2)
	v_mul_f32_e32 v215, v180, v170
	v_mul_f32_e32 v210, v179, v170
	v_fma_f32 v136, v118, v128, -v209
	v_fmac_f32_e32 v137, v119, v128
	s_waitcnt vmcnt(9)
	v_mul_f32_e32 v118, v182, v192
	v_mul_f32_e32 v119, v181, v192
	v_fma_f32 v128, v120, v135, -v214
	v_fmac_f32_e32 v129, v121, v135
	v_fma_f32 v209, v179, v169, -v215
	v_fmac_f32_e32 v210, v180, v169
	s_waitcnt vmcnt(8)
	v_mul_f32_e32 v120, v125, v194
	v_mul_f32_e32 v121, v124, v194
	s_waitcnt vmcnt(7)
	v_mul_f32_e32 v135, v127, v196
	v_mul_f32_e32 v170, v126, v196
	s_waitcnt vmcnt(6) lgkmcnt(1)
	v_mul_f32_e32 v179, v184, v198
	v_mul_f32_e32 v180, v183, v198
	s_waitcnt vmcnt(5)
	v_mul_f32_e32 v214, v186, v200
	v_mul_f32_e32 v192, v185, v200
	s_waitcnt vmcnt(4) lgkmcnt(0)
	v_mul_f32_e32 v200, v188, v202
	v_mul_f32_e32 v194, v187, v202
	s_waitcnt vmcnt(3)
	v_mul_f32_e32 v202, v190, v204
	v_mul_f32_e32 v196, v189, v204
	v_fma_f32 v118, v181, v191, -v118
	v_fmac_f32_e32 v119, v182, v191
	ds_write2_b64 v171, v[136:137], v[128:129] offset0:91 offset1:238
	v_fma_f32 v120, v124, v193, -v120
	v_fmac_f32_e32 v121, v125, v193
	v_fma_f32 v169, v126, v195, -v135
	v_fmac_f32_e32 v170, v127, v195
	;; [unrolled: 2-line block ×6, first 2 shown]
	ds_write2_b64 v211, v[209:210], v[118:119] offset0:1 offset1:148
	ds_write2_b64 v117, v[120:121], v[169:170] offset0:39 offset1:186
	;; [unrolled: 1-line block ×4, first 2 shown]
	ds_read_b64 v[117:118], v171 offset:14840
	s_waitcnt vmcnt(2)
	v_mul_f32_e32 v204, v132, v206
	v_mul_f32_e32 v198, v131, v206
	s_waitcnt vmcnt(1)
	v_mul_f32_e32 v206, v134, v208
	v_mul_f32_e32 v120, v133, v208
	v_fma_f32 v197, v131, v205, -v204
	v_fmac_f32_e32 v198, v132, v205
	v_fma_f32 v119, v133, v207, -v206
	v_fmac_f32_e32 v120, v134, v207
	ds_write2_b64 v116, v[197:198], v[119:120] offset0:25 offset1:172
	s_waitcnt vmcnt(0) lgkmcnt(1)
	v_mul_f32_e32 v116, v118, v113
	v_fma_f32 v116, v117, v112, -v116
	v_mul_f32_e32 v117, v117, v113
	v_fmac_f32_e32 v117, v118, v112
	ds_write_b64 v171, v[116:117] offset:14840
.LBB0_9:
	s_or_b64 exec, exec, s[2:3]
	s_waitcnt lgkmcnt(0)
	s_barrier
	ds_read2_b64 v[134:137], v171 offset1:147
	ds_read2_b64 v[126:129], v115 offset0:38 offset1:185
	ds_read2_b64 v[118:121], v114 offset0:76 offset1:223
	;; [unrolled: 1-line block ×5, first 2 shown]
	ds_read_b64 v[169:170], v171 offset:14112
	s_and_saveexec_b64 s[2:3], s[0:1]
	s_cbranch_execz .LBB0_11
; %bb.10:
	v_add_u32_e32 v0, 0xc00, v171
	ds_read2_b64 v[102:105], v0 offset0:1 offset1:148
	v_add_u32_e32 v0, 0x1400, v171
	ds_read2_b64 v[106:109], v0 offset0:39 offset1:186
	;; [unrolled: 2-line block ×5, first 2 shown]
	ds_read2_b64 v[0:3], v0 offset0:25 offset1:172
	ds_read_b64 v[167:168], v171 offset:14840
	s_waitcnt lgkmcnt(4)
	v_mov_b32_e32 v100, v112
	v_mov_b32_e32 v101, v113
.LBB0_11:
	s_or_b64 exec, exec, s[2:3]
	s_waitcnt lgkmcnt(6)
	v_add_f32_e32 v112, v134, v136
	v_add_f32_e32 v113, v135, v137
	s_waitcnt lgkmcnt(5)
	v_add_f32_e32 v112, v112, v126
	v_add_f32_e32 v113, v113, v127
	v_add_f32_e32 v112, v112, v128
	v_add_f32_e32 v113, v113, v129
	s_waitcnt lgkmcnt(4)
	v_add_f32_e32 v112, v112, v118
	v_add_f32_e32 v113, v113, v119
	v_add_f32_e32 v112, v112, v120
	v_add_f32_e32 v113, v113, v121
	s_waitcnt lgkmcnt(3)
	v_add_f32_e32 v112, v112, v114
	v_add_f32_e32 v113, v113, v115
	v_add_f32_e32 v112, v112, v116
	v_add_f32_e32 v113, v113, v117
	s_waitcnt lgkmcnt(2)
	v_add_f32_e32 v112, v112, v122
	v_add_f32_e32 v113, v113, v123
	v_add_f32_e32 v112, v112, v124
	v_add_f32_e32 v113, v113, v125
	s_waitcnt lgkmcnt(1)
	v_add_f32_e32 v112, v112, v130
	v_add_f32_e32 v113, v113, v131
	v_add_f32_e32 v112, v112, v132
	s_waitcnt lgkmcnt(0)
	v_add_f32_e32 v180, v170, v137
	v_sub_f32_e32 v137, v137, v170
	v_add_f32_e32 v113, v113, v133
	v_add_f32_e32 v112, v112, v169
	;; [unrolled: 1-line block ×3, first 2 shown]
	v_sub_f32_e32 v136, v136, v169
	v_mul_f32_e32 v169, 0xbeedf032, v137
	v_mul_f32_e32 v183, 0xbf52af12, v137
	v_mul_f32_e32 v187, 0xbf7e222b, v137
	v_mul_f32_e32 v191, 0xbf6f5d39, v137
	v_mul_f32_e32 v195, 0xbf29c268, v137
	v_mul_f32_e32 v137, 0xbe750f2a, v137
	v_add_f32_e32 v113, v113, v170
	s_mov_b32 s4, 0x3f62ad3f
	v_mov_b32_e32 v170, v169
	s_mov_b32 s5, 0x3f116cb1
	v_mov_b32_e32 v184, v183
	;; [unrolled: 2-line block ×6, first 2 shown]
	v_fmac_f32_e32 v170, 0x3f62ad3f, v179
	v_mul_f32_e32 v181, 0x3f62ad3f, v180
	v_fma_f32 v169, v179, s4, -v169
	v_fmac_f32_e32 v184, 0x3f116cb1, v179
	v_mul_f32_e32 v185, 0x3f116cb1, v180
	v_fma_f32 v183, v179, s5, -v183
	v_fmac_f32_e32 v188, 0x3df6dbef, v179
	v_mul_f32_e32 v189, 0x3df6dbef, v180
	v_fma_f32 v187, v179, s12, -v187
	v_fmac_f32_e32 v192, 0xbeb58ec6, v179
	v_mul_f32_e32 v193, 0xbeb58ec6, v180
	v_fma_f32 v191, v179, s13, -v191
	v_fmac_f32_e32 v196, 0xbf3f9e67, v179
	v_mul_f32_e32 v197, 0xbf3f9e67, v180
	v_fma_f32 v195, v179, s14, -v195
	v_fmac_f32_e32 v199, 0xbf788fa5, v179
	v_mul_f32_e32 v180, 0xbf788fa5, v180
	v_fma_f32 v137, v179, s15, -v137
	v_add_f32_e32 v170, v134, v170
	v_mov_b32_e32 v182, v181
	v_add_f32_e32 v169, v134, v169
	v_add_f32_e32 v184, v134, v184
	v_mov_b32_e32 v186, v185
	v_add_f32_e32 v183, v134, v183
	;; [unrolled: 3-line block ×6, first 2 shown]
	v_add_f32_e32 v137, v133, v127
	v_sub_f32_e32 v127, v127, v133
	v_fmac_f32_e32 v182, 0x3eedf032, v136
	v_fmac_f32_e32 v181, 0xbeedf032, v136
	;; [unrolled: 1-line block ×12, first 2 shown]
	v_add_f32_e32 v136, v132, v126
	v_sub_f32_e32 v126, v126, v132
	v_mul_f32_e32 v132, 0xbf52af12, v127
	v_mov_b32_e32 v133, v132
	v_fmac_f32_e32 v133, 0x3f116cb1, v136
	v_add_f32_e32 v133, v133, v170
	v_mul_f32_e32 v170, 0x3f116cb1, v137
	v_add_f32_e32 v181, v135, v181
	v_mov_b32_e32 v179, v170
	v_fma_f32 v132, v136, s5, -v132
	v_fmac_f32_e32 v170, 0xbf52af12, v126
	v_add_f32_e32 v132, v132, v169
	v_add_f32_e32 v169, v170, v181
	v_mul_f32_e32 v170, 0xbf6f5d39, v127
	v_add_f32_e32 v182, v135, v182
	v_add_f32_e32 v186, v135, v186
	;; [unrolled: 1-line block ×11, first 2 shown]
	v_mov_b32_e32 v180, v170
	v_fma_f32 v170, v136, s13, -v170
	v_fmac_f32_e32 v179, 0x3f52af12, v126
	v_fmac_f32_e32 v180, 0xbeb58ec6, v136
	v_mul_f32_e32 v181, 0xbeb58ec6, v137
	v_add_f32_e32 v170, v170, v183
	v_mul_f32_e32 v183, 0xbe750f2a, v127
	v_add_f32_e32 v179, v179, v182
	v_add_f32_e32 v180, v180, v184
	v_mov_b32_e32 v182, v181
	v_fmac_f32_e32 v181, 0xbf6f5d39, v126
	v_mov_b32_e32 v184, v183
	v_fma_f32 v183, v136, s15, -v183
	v_fmac_f32_e32 v182, 0x3f6f5d39, v126
	v_add_f32_e32 v181, v181, v185
	v_fmac_f32_e32 v184, 0xbf788fa5, v136
	v_mul_f32_e32 v185, 0xbf788fa5, v137
	v_add_f32_e32 v183, v183, v187
	v_mul_f32_e32 v187, 0x3f29c268, v127
	v_add_f32_e32 v182, v182, v186
	v_add_f32_e32 v184, v184, v188
	v_mov_b32_e32 v186, v185
	v_fmac_f32_e32 v185, 0xbe750f2a, v126
	v_mov_b32_e32 v188, v187
	v_fma_f32 v187, v136, s14, -v187
	v_fmac_f32_e32 v186, 0x3e750f2a, v126
	v_add_f32_e32 v185, v185, v189
	v_fmac_f32_e32 v188, 0xbf3f9e67, v136
	v_mul_f32_e32 v189, 0xbf3f9e67, v137
	v_add_f32_e32 v187, v187, v191
	v_mul_f32_e32 v191, 0x3f7e222b, v127
	v_add_f32_e32 v186, v186, v190
	v_add_f32_e32 v188, v188, v192
	v_mov_b32_e32 v190, v189
	v_fmac_f32_e32 v189, 0x3f29c268, v126
	v_mov_b32_e32 v192, v191
	v_fmac_f32_e32 v190, 0xbf29c268, v126
	v_add_f32_e32 v189, v189, v193
	v_fmac_f32_e32 v192, 0x3df6dbef, v136
	v_mul_f32_e32 v193, 0x3df6dbef, v137
	v_mul_f32_e32 v137, 0x3f62ad3f, v137
	v_add_f32_e32 v190, v190, v194
	v_add_f32_e32 v192, v192, v196
	v_mov_b32_e32 v194, v193
	v_fma_f32 v191, v136, s12, -v191
	v_mul_f32_e32 v127, 0x3eedf032, v127
	v_mov_b32_e32 v196, v137
	v_fmac_f32_e32 v137, 0x3eedf032, v126
	v_fmac_f32_e32 v194, 0xbf7e222b, v126
	v_add_f32_e32 v191, v191, v195
	v_fmac_f32_e32 v193, 0x3f7e222b, v126
	v_mov_b32_e32 v195, v127
	v_fmac_f32_e32 v196, 0xbeedf032, v126
	v_fma_f32 v127, v136, s4, -v127
	v_add_f32_e32 v126, v137, v135
	v_add_f32_e32 v135, v131, v129
	v_sub_f32_e32 v129, v129, v131
	v_add_f32_e32 v127, v127, v134
	v_add_f32_e32 v134, v130, v128
	v_sub_f32_e32 v128, v128, v130
	v_mul_f32_e32 v130, 0xbf7e222b, v129
	v_mov_b32_e32 v131, v130
	v_fmac_f32_e32 v131, 0x3df6dbef, v134
	v_add_f32_e32 v131, v131, v133
	v_mul_f32_e32 v133, 0x3df6dbef, v135
	v_fmac_f32_e32 v195, 0x3f62ad3f, v136
	v_mov_b32_e32 v136, v133
	v_fma_f32 v130, v134, s12, -v130
	v_fmac_f32_e32 v133, 0xbf7e222b, v128
	v_add_f32_e32 v130, v130, v132
	v_add_f32_e32 v132, v133, v169
	v_mul_f32_e32 v133, 0xbe750f2a, v129
	v_mov_b32_e32 v137, v133
	v_fma_f32 v133, v134, s15, -v133
	v_fmac_f32_e32 v136, 0x3f7e222b, v128
	v_fmac_f32_e32 v137, 0xbf788fa5, v134
	v_mul_f32_e32 v169, 0xbf788fa5, v135
	v_add_f32_e32 v133, v133, v170
	v_mul_f32_e32 v170, 0x3f6f5d39, v129
	v_add_f32_e32 v136, v136, v179
	v_add_f32_e32 v137, v137, v180
	v_mov_b32_e32 v179, v169
	v_fmac_f32_e32 v169, 0xbe750f2a, v128
	v_mov_b32_e32 v180, v170
	v_fma_f32 v170, v134, s13, -v170
	v_fmac_f32_e32 v179, 0x3e750f2a, v128
	v_add_f32_e32 v169, v169, v181
	v_fmac_f32_e32 v180, 0xbeb58ec6, v134
	v_mul_f32_e32 v181, 0xbeb58ec6, v135
	v_add_f32_e32 v170, v170, v183
	v_mul_f32_e32 v183, 0x3eedf032, v129
	v_add_f32_e32 v179, v179, v182
	v_add_f32_e32 v180, v180, v184
	v_mov_b32_e32 v182, v181
	v_fmac_f32_e32 v181, 0x3f6f5d39, v128
	v_mov_b32_e32 v184, v183
	v_fma_f32 v183, v134, s4, -v183
	v_fmac_f32_e32 v182, 0xbf6f5d39, v128
	v_add_f32_e32 v181, v181, v185
	v_fmac_f32_e32 v184, 0x3f62ad3f, v134
	v_mul_f32_e32 v185, 0x3f62ad3f, v135
	v_add_f32_e32 v183, v183, v187
	v_mul_f32_e32 v187, 0xbf52af12, v129
	v_add_f32_e32 v182, v182, v186
	v_add_f32_e32 v184, v184, v188
	v_mov_b32_e32 v186, v185
	v_fmac_f32_e32 v185, 0x3eedf032, v128
	v_mov_b32_e32 v188, v187
	v_fma_f32 v187, v134, s5, -v187
	v_mul_f32_e32 v129, 0xbf29c268, v129
	v_fmac_f32_e32 v186, 0xbeedf032, v128
	v_add_f32_e32 v185, v185, v189
	v_fmac_f32_e32 v188, 0x3f116cb1, v134
	v_mul_f32_e32 v189, 0x3f116cb1, v135
	v_add_f32_e32 v187, v187, v191
	v_mov_b32_e32 v191, v129
	v_mul_f32_e32 v135, 0xbf3f9e67, v135
	v_fma_f32 v129, v134, s14, -v129
	v_add_f32_e32 v186, v186, v190
	v_add_f32_e32 v188, v188, v192
	v_mov_b32_e32 v190, v189
	v_mov_b32_e32 v192, v135
	v_add_f32_e32 v127, v129, v127
	v_add_f32_e32 v129, v125, v119
	v_sub_f32_e32 v119, v119, v125
	v_fmac_f32_e32 v190, 0x3f52af12, v128
	v_fmac_f32_e32 v189, 0xbf52af12, v128
	;; [unrolled: 1-line block ×4, first 2 shown]
	v_add_f32_e32 v128, v124, v118
	v_sub_f32_e32 v118, v118, v124
	v_mul_f32_e32 v124, 0xbf6f5d39, v119
	v_mov_b32_e32 v125, v124
	v_fmac_f32_e32 v125, 0xbeb58ec6, v128
	v_add_f32_e32 v125, v125, v131
	v_mul_f32_e32 v131, 0xbeb58ec6, v129
	v_fmac_f32_e32 v191, 0xbf3f9e67, v134
	v_mov_b32_e32 v134, v131
	v_fma_f32 v124, v128, s13, -v124
	v_fmac_f32_e32 v131, 0xbf6f5d39, v118
	v_add_f32_e32 v126, v135, v126
	v_fmac_f32_e32 v134, 0x3f6f5d39, v118
	v_add_f32_e32 v124, v124, v130
	v_add_f32_e32 v130, v131, v132
	v_mul_f32_e32 v131, 0x3f29c268, v119
	v_mul_f32_e32 v135, 0xbf3f9e67, v129
	v_add_f32_e32 v134, v134, v136
	v_mov_b32_e32 v132, v131
	v_mov_b32_e32 v136, v135
	v_fma_f32 v131, v128, s14, -v131
	v_fmac_f32_e32 v135, 0x3f29c268, v118
	v_fmac_f32_e32 v132, 0xbf3f9e67, v128
	v_add_f32_e32 v131, v131, v133
	v_add_f32_e32 v133, v135, v169
	v_mul_f32_e32 v135, 0x3eedf032, v119
	v_add_f32_e32 v132, v132, v137
	v_mov_b32_e32 v137, v135
	v_fma_f32 v135, v128, s4, -v135
	v_fmac_f32_e32 v136, 0xbf29c268, v118
	v_fmac_f32_e32 v137, 0x3f62ad3f, v128
	v_mul_f32_e32 v169, 0x3f62ad3f, v129
	v_add_f32_e32 v135, v135, v170
	v_mul_f32_e32 v170, 0xbf7e222b, v119
	v_add_f32_e32 v136, v136, v179
	v_add_f32_e32 v137, v137, v180
	v_mov_b32_e32 v179, v169
	v_fmac_f32_e32 v169, 0x3eedf032, v118
	v_mov_b32_e32 v180, v170
	v_fma_f32 v170, v128, s12, -v170
	v_fmac_f32_e32 v179, 0xbeedf032, v118
	v_add_f32_e32 v169, v169, v181
	v_fmac_f32_e32 v180, 0x3df6dbef, v128
	v_mul_f32_e32 v181, 0x3df6dbef, v129
	v_add_f32_e32 v170, v170, v183
	v_mul_f32_e32 v183, 0x3e750f2a, v119
	v_add_f32_e32 v179, v179, v182
	v_add_f32_e32 v180, v180, v184
	v_mov_b32_e32 v182, v181
	v_fmac_f32_e32 v181, 0xbf7e222b, v118
	v_mov_b32_e32 v184, v183
	v_fma_f32 v183, v128, s15, -v183
	v_mul_f32_e32 v119, 0x3f52af12, v119
	v_fmac_f32_e32 v182, 0x3f7e222b, v118
	v_add_f32_e32 v181, v181, v185
	v_fmac_f32_e32 v184, 0xbf788fa5, v128
	v_mul_f32_e32 v185, 0xbf788fa5, v129
	v_add_f32_e32 v183, v183, v187
	v_mov_b32_e32 v187, v119
	v_mul_f32_e32 v129, 0x3f116cb1, v129
	v_fma_f32 v119, v128, s5, -v119
	v_add_f32_e32 v182, v182, v186
	v_add_f32_e32 v184, v184, v188
	v_mov_b32_e32 v186, v185
	v_mov_b32_e32 v188, v129
	v_add_f32_e32 v119, v119, v127
	v_fmac_f32_e32 v129, 0x3f52af12, v118
	v_add_f32_e32 v127, v123, v121
	v_sub_f32_e32 v121, v121, v123
	v_fmac_f32_e32 v186, 0xbe750f2a, v118
	v_fmac_f32_e32 v185, 0x3e750f2a, v118
	v_fmac_f32_e32 v188, 0xbf52af12, v118
	v_add_f32_e32 v118, v129, v126
	v_add_f32_e32 v126, v122, v120
	v_sub_f32_e32 v120, v120, v122
	v_mul_f32_e32 v122, 0xbf29c268, v121
	v_mov_b32_e32 v123, v122
	v_fmac_f32_e32 v123, 0xbf3f9e67, v126
	v_add_f32_e32 v123, v123, v125
	v_mul_f32_e32 v125, 0xbf3f9e67, v127
	v_fmac_f32_e32 v187, 0x3f116cb1, v128
	v_mov_b32_e32 v128, v125
	v_fma_f32 v122, v126, s14, -v122
	v_fmac_f32_e32 v125, 0xbf29c268, v120
	v_add_f32_e32 v122, v122, v124
	v_add_f32_e32 v124, v125, v130
	v_mul_f32_e32 v125, 0x3f7e222b, v121
	v_mov_b32_e32 v129, v125
	v_fmac_f32_e32 v129, 0x3df6dbef, v126
	v_mul_f32_e32 v130, 0x3df6dbef, v127
	v_fma_f32 v125, v126, s12, -v125
	v_add_f32_e32 v129, v129, v132
	v_mov_b32_e32 v132, v130
	v_add_f32_e32 v125, v125, v131
	v_fmac_f32_e32 v130, 0x3f7e222b, v120
	v_mul_f32_e32 v131, 0xbf52af12, v121
	v_fmac_f32_e32 v128, 0x3f29c268, v120
	v_add_f32_e32 v130, v130, v133
	v_mov_b32_e32 v133, v131
	v_fma_f32 v131, v126, s5, -v131
	v_add_f32_e32 v128, v128, v134
	v_fmac_f32_e32 v132, 0xbf7e222b, v120
	v_fmac_f32_e32 v133, 0x3f116cb1, v126
	v_mul_f32_e32 v134, 0x3f116cb1, v127
	v_add_f32_e32 v131, v131, v135
	v_mul_f32_e32 v135, 0x3e750f2a, v121
	v_add_f32_e32 v132, v132, v136
	v_add_f32_e32 v133, v133, v137
	v_mov_b32_e32 v136, v134
	v_fmac_f32_e32 v134, 0xbf52af12, v120
	v_mov_b32_e32 v137, v135
	v_fma_f32 v135, v126, s15, -v135
	v_fmac_f32_e32 v136, 0x3f52af12, v120
	v_add_f32_e32 v134, v134, v169
	v_fmac_f32_e32 v137, 0xbf788fa5, v126
	v_mul_f32_e32 v169, 0xbf788fa5, v127
	v_add_f32_e32 v135, v135, v170
	v_mul_f32_e32 v170, 0x3eedf032, v121
	v_add_f32_e32 v136, v136, v179
	v_add_f32_e32 v137, v137, v180
	v_mov_b32_e32 v179, v169
	v_fmac_f32_e32 v169, 0x3e750f2a, v120
	v_mov_b32_e32 v180, v170
	v_add_f32_e32 v196, v196, v200
	v_add_f32_e32 v169, v169, v181
	v_fmac_f32_e32 v180, 0x3f62ad3f, v126
	v_mul_f32_e32 v181, 0x3f62ad3f, v127
	v_mul_f32_e32 v127, 0xbeb58ec6, v127
	v_add_f32_e32 v192, v192, v196
	v_add_f32_e32 v180, v180, v184
	v_mov_b32_e32 v184, v127
	v_add_f32_e32 v194, v194, v198
	v_add_f32_e32 v195, v195, v199
	;; [unrolled: 1-line block ×3, first 2 shown]
	v_fma_f32 v170, v126, s4, -v170
	v_mul_f32_e32 v121, 0xbf6f5d39, v121
	v_fmac_f32_e32 v184, 0x3f6f5d39, v120
	v_add_f32_e32 v193, v193, v197
	v_add_f32_e32 v190, v190, v194
	;; [unrolled: 1-line block ×3, first 2 shown]
	v_fmac_f32_e32 v179, 0xbe750f2a, v120
	v_add_f32_e32 v170, v170, v183
	v_mov_b32_e32 v183, v121
	v_add_f32_e32 v184, v184, v188
	v_add_f32_e32 v188, v117, v115
	v_add_f32_e32 v189, v189, v193
	v_add_f32_e32 v186, v186, v190
	v_add_f32_e32 v187, v187, v191
	v_add_f32_e32 v179, v179, v182
	v_mov_b32_e32 v182, v181
	v_fmac_f32_e32 v183, 0xbeb58ec6, v126
	v_sub_f32_e32 v190, v115, v117
	v_mul_f32_e32 v117, 0xbf788fa5, v188
	v_add_f32_e32 v185, v185, v189
	v_fmac_f32_e32 v182, 0xbeedf032, v120
	v_fmac_f32_e32 v181, 0x3eedf032, v120
	v_add_f32_e32 v183, v183, v187
	v_fmac_f32_e32 v127, 0xbf6f5d39, v120
	v_add_f32_e32 v187, v116, v114
	v_sub_f32_e32 v189, v114, v116
	v_mul_f32_e32 v116, 0xbe750f2a, v190
	v_mov_b32_e32 v115, v117
	v_mul_f32_e32 v120, 0x3eedf032, v190
	v_add_f32_e32 v182, v182, v186
	v_fma_f32 v121, v126, s13, -v121
	v_add_f32_e32 v186, v127, v118
	v_mov_b32_e32 v114, v116
	v_fmac_f32_e32 v115, 0x3e750f2a, v189
	v_fmac_f32_e32 v117, 0xbe750f2a, v189
	v_mov_b32_e32 v118, v120
	v_fma_f32 v120, v187, s4, -v120
	v_add_f32_e32 v181, v181, v185
	v_add_f32_e32 v185, v121, v119
	v_fmac_f32_e32 v114, 0xbf788fa5, v187
	v_add_f32_e32 v115, v115, v128
	v_fma_f32 v116, v187, s15, -v116
	v_add_f32_e32 v117, v117, v124
	v_mul_f32_e32 v121, 0x3f62ad3f, v188
	v_add_f32_e32 v120, v120, v125
	v_mul_f32_e32 v124, 0xbf29c268, v190
	v_mul_f32_e32 v125, 0xbf3f9e67, v188
	;; [unrolled: 1-line block ×3, first 2 shown]
	v_add_f32_e32 v114, v114, v123
	v_add_f32_e32 v116, v116, v122
	v_mov_b32_e32 v119, v121
	v_mov_b32_e32 v122, v124
	;; [unrolled: 1-line block ×4, first 2 shown]
	v_fmac_f32_e32 v118, 0x3f62ad3f, v187
	v_fmac_f32_e32 v119, 0xbeedf032, v189
	;; [unrolled: 1-line block ×5, first 2 shown]
	v_add_f32_e32 v118, v118, v129
	v_add_f32_e32 v119, v119, v132
	v_fmac_f32_e32 v121, 0x3eedf032, v189
	v_add_f32_e32 v122, v122, v133
	v_add_f32_e32 v123, v123, v136
	v_fma_f32 v124, v187, s14, -v124
	v_fmac_f32_e32 v125, 0xbf29c268, v189
	v_add_f32_e32 v126, v126, v137
	v_mul_f32_e32 v129, 0x3f116cb1, v188
	v_fma_f32 v128, v187, s5, -v128
	v_mul_f32_e32 v132, 0xbf6f5d39, v190
	v_mul_f32_e32 v133, 0xbeb58ec6, v188
	;; [unrolled: 1-line block ×4, first 2 shown]
	v_add_f32_e32 v121, v121, v130
	v_add_f32_e32 v124, v124, v131
	;; [unrolled: 1-line block ×3, first 2 shown]
	v_mov_b32_e32 v127, v129
	v_add_f32_e32 v128, v128, v135
	v_mov_b32_e32 v130, v132
	v_mov_b32_e32 v131, v133
	;; [unrolled: 1-line block ×4, first 2 shown]
	v_fmac_f32_e32 v127, 0xbf52af12, v189
	v_fmac_f32_e32 v129, 0x3f52af12, v189
	;; [unrolled: 1-line block ×4, first 2 shown]
	v_fma_f32 v132, v187, s13, -v132
	v_fmac_f32_e32 v133, 0xbf6f5d39, v189
	v_fmac_f32_e32 v134, 0x3df6dbef, v187
	;; [unrolled: 1-line block ×3, first 2 shown]
	v_fma_f32 v136, v187, s12, -v136
	v_fmac_f32_e32 v137, 0x3f7e222b, v189
	v_add_f32_e32 v127, v127, v179
	v_add_f32_e32 v129, v129, v169
	;; [unrolled: 1-line block ×10, first 2 shown]
	s_barrier
	ds_write2_b64 v177, v[112:113], v[114:115] offset1:1
	ds_write2_b64 v177, v[118:119], v[122:123] offset0:2 offset1:3
	ds_write2_b64 v177, v[126:127], v[130:131] offset0:4 offset1:5
	ds_write2_b64 v177, v[134:135], v[136:137] offset0:6 offset1:7
	ds_write2_b64 v177, v[132:133], v[128:129] offset0:8 offset1:9
	ds_write2_b64 v177, v[124:125], v[120:121] offset0:10 offset1:11
	ds_write_b64 v177, v[116:117] offset:96
	s_and_saveexec_b64 s[2:3], s[0:1]
	s_cbranch_execz .LBB0_13
; %bb.12:
	v_add_f32_e32 v122, v168, v99
	v_mul_f32_e32 v124, 0xbf788fa5, v122
	v_add_f32_e32 v123, v3, v103
	v_sub_f32_e32 v125, v98, v167
	v_mov_b32_e32 v112, v124
	v_mul_f32_e32 v126, 0x3f62ad3f, v123
	v_fmac_f32_e32 v112, 0x3e750f2a, v125
	v_sub_f32_e32 v127, v102, v2
	v_mov_b32_e32 v113, v126
	v_add_f32_e32 v128, v1, v105
	v_add_f32_e32 v112, v97, v112
	v_fmac_f32_e32 v113, 0xbeedf032, v127
	v_mul_f32_e32 v129, 0xbf3f9e67, v128
	v_add_f32_e32 v112, v113, v112
	v_sub_f32_e32 v130, v104, v0
	v_mov_b32_e32 v113, v129
	v_add_f32_e32 v131, v7, v107
	v_fmac_f32_e32 v113, 0x3f29c268, v130
	v_mul_f32_e32 v132, 0x3f116cb1, v131
	v_add_f32_e32 v112, v113, v112
	v_sub_f32_e32 v133, v106, v6
	v_mov_b32_e32 v113, v132
	;; [unrolled: 6-line block ×4, first 2 shown]
	v_sub_f32_e32 v179, v99, v168
	v_fmac_f32_e32 v113, 0xbf7e222b, v170
	v_mul_f32_e32 v180, 0xbe750f2a, v179
	v_sub_f32_e32 v182, v103, v3
	v_add_f32_e32 v113, v113, v112
	v_add_f32_e32 v177, v167, v98
	v_mov_b32_e32 v112, v180
	v_mul_f32_e32 v183, 0x3eedf032, v182
	v_fmac_f32_e32 v112, 0xbf788fa5, v177
	v_add_f32_e32 v181, v2, v102
	v_mov_b32_e32 v114, v183
	v_sub_f32_e32 v185, v105, v1
	v_add_f32_e32 v112, v96, v112
	v_fmac_f32_e32 v114, 0x3f62ad3f, v181
	v_mul_f32_e32 v186, 0xbf29c268, v185
	v_add_f32_e32 v112, v114, v112
	v_add_f32_e32 v184, v0, v104
	v_mov_b32_e32 v114, v186
	v_sub_f32_e32 v188, v107, v7
	v_fmac_f32_e32 v114, 0xbf3f9e67, v184
	v_mul_f32_e32 v189, 0x3f52af12, v188
	v_add_f32_e32 v112, v114, v112
	v_add_f32_e32 v187, v6, v106
	v_mov_b32_e32 v114, v189
	v_sub_f32_e32 v191, v109, v5
	;; [unrolled: 6-line block ×3, first 2 shown]
	v_fmac_f32_e32 v114, 0xbeb58ec6, v190
	v_mul_f32_e32 v195, 0x3f7e222b, v194
	v_add_f32_e32 v112, v114, v112
	v_add_f32_e32 v193, v100, v110
	v_mov_b32_e32 v114, v195
	v_fmac_f32_e32 v114, 0x3df6dbef, v193
	v_mul_f32_e32 v196, 0xbf3f9e67, v122
	v_add_f32_e32 v112, v114, v112
	v_mov_b32_e32 v114, v196
	v_mul_f32_e32 v197, 0x3df6dbef, v123
	v_fmac_f32_e32 v114, 0x3f29c268, v125
	v_mov_b32_e32 v115, v197
	v_add_f32_e32 v114, v97, v114
	v_fmac_f32_e32 v115, 0xbf7e222b, v127
	v_mul_f32_e32 v198, 0x3f116cb1, v128
	v_add_f32_e32 v114, v115, v114
	v_mov_b32_e32 v115, v198
	v_fmac_f32_e32 v115, 0x3f52af12, v130
	v_mul_f32_e32 v199, 0xbf788fa5, v131
	v_add_f32_e32 v114, v115, v114
	v_mov_b32_e32 v115, v199
	v_fmac_f32_e32 v115, 0xbe750f2a, v133
	v_mul_f32_e32 v200, 0x3f62ad3f, v134
	v_add_f32_e32 v114, v115, v114
	v_mov_b32_e32 v115, v200
	v_fmac_f32_e32 v115, 0xbeedf032, v136
	v_mul_f32_e32 v201, 0xbeb58ec6, v137
	v_add_f32_e32 v114, v115, v114
	v_mov_b32_e32 v115, v201
	v_fmac_f32_e32 v115, 0x3f6f5d39, v170
	v_mul_f32_e32 v202, 0xbf29c268, v179
	v_add_f32_e32 v115, v115, v114
	v_mov_b32_e32 v114, v202
	v_mul_f32_e32 v203, 0x3f7e222b, v182
	v_fmac_f32_e32 v114, 0xbf3f9e67, v177
	v_mov_b32_e32 v116, v203
	v_add_f32_e32 v114, v96, v114
	v_fmac_f32_e32 v116, 0x3df6dbef, v181
	v_mul_f32_e32 v204, 0xbf52af12, v185
	v_add_f32_e32 v114, v116, v114
	v_mov_b32_e32 v116, v204
	v_fmac_f32_e32 v116, 0x3f116cb1, v184
	v_mul_f32_e32 v205, 0x3e750f2a, v188
	v_add_f32_e32 v114, v116, v114
	v_mov_b32_e32 v116, v205
	v_fmac_f32_e32 v116, 0xbf788fa5, v187
	v_mul_f32_e32 v206, 0x3eedf032, v191
	v_add_f32_e32 v114, v116, v114
	v_mov_b32_e32 v116, v206
	v_fmac_f32_e32 v116, 0x3f62ad3f, v190
	v_mul_f32_e32 v207, 0xbf6f5d39, v194
	;; [unrolled: 24-line block ×3, first 2 shown]
	v_add_f32_e32 v116, v117, v116
	v_mov_b32_e32 v117, v213
	v_fmac_f32_e32 v117, 0xbf52af12, v170
	v_mul_f32_e32 v214, 0xbf6f5d39, v179
	v_add_f32_e32 v117, v117, v116
	v_mov_b32_e32 v116, v214
	v_mul_f32_e32 v215, 0x3f29c268, v182
	v_fmac_f32_e32 v116, 0xbeb58ec6, v177
	v_mov_b32_e32 v118, v215
	v_add_f32_e32 v99, v99, v97
	v_add_f32_e32 v116, v96, v116
	v_fmac_f32_e32 v118, 0xbf3f9e67, v181
	v_mul_f32_e32 v216, 0x3eedf032, v185
	v_add_f32_e32 v99, v103, v99
	v_add_f32_e32 v116, v118, v116
	v_mov_b32_e32 v118, v216
	v_add_f32_e32 v99, v105, v99
	v_fmac_f32_e32 v118, 0x3f62ad3f, v184
	v_mul_f32_e32 v217, 0xbf7e222b, v188
	v_add_f32_e32 v99, v107, v99
	v_add_f32_e32 v116, v118, v116
	v_mov_b32_e32 v118, v217
	;; [unrolled: 6-line block ×5, first 2 shown]
	v_mul_f32_e32 v221, 0xbf788fa5, v123
	v_add_f32_e32 v1, v3, v1
	v_add_f32_e32 v3, v98, v96
	v_fmac_f32_e32 v118, 0x3f7e222b, v125
	v_mov_b32_e32 v119, v221
	v_add_f32_e32 v3, v102, v3
	v_add_f32_e32 v118, v97, v118
	v_fmac_f32_e32 v119, 0x3e750f2a, v127
	v_mul_f32_e32 v222, 0xbeb58ec6, v128
	v_add_f32_e32 v3, v104, v3
	v_add_f32_e32 v118, v119, v118
	v_mov_b32_e32 v119, v222
	v_add_f32_e32 v3, v106, v3
	v_fmac_f32_e32 v119, 0xbf6f5d39, v130
	v_mul_f32_e32 v223, 0x3f62ad3f, v131
	v_add_f32_e32 v3, v108, v3
	v_add_f32_e32 v118, v119, v118
	v_mov_b32_e32 v119, v223
	v_add_f32_e32 v3, v110, v3
	v_fmac_f32_e32 v119, 0xbeedf032, v133
	v_mul_f32_e32 v224, 0x3f116cb1, v134
	v_add_f32_e32 v3, v100, v3
	v_add_f32_e32 v118, v119, v118
	v_mov_b32_e32 v119, v224
	v_add_f32_e32 v3, v4, v3
	v_fmac_f32_e32 v119, 0x3f52af12, v136
	v_mul_f32_e32 v225, 0xbf3f9e67, v137
	v_add_f32_e32 v3, v6, v3
	v_add_f32_e32 v118, v119, v118
	v_mov_b32_e32 v119, v225
	v_add_f32_e32 v0, v0, v3
	v_fmac_f32_e32 v124, 0xbe750f2a, v125
	v_fmac_f32_e32 v119, 0x3f29c268, v170
	v_mul_f32_e32 v226, 0xbf7e222b, v179
	v_add_f32_e32 v0, v2, v0
	v_add_f32_e32 v2, v97, v124
	v_fmac_f32_e32 v126, 0x3eedf032, v127
	v_add_f32_e32 v119, v119, v118
	v_mov_b32_e32 v118, v226
	v_mul_f32_e32 v227, 0xbe750f2a, v182
	v_add_f32_e32 v2, v126, v2
	v_fmac_f32_e32 v129, 0xbf29c268, v130
	v_fmac_f32_e32 v118, 0x3df6dbef, v177
	v_mov_b32_e32 v120, v227
	v_add_f32_e32 v2, v129, v2
	v_fmac_f32_e32 v132, 0x3f52af12, v133
	v_add_f32_e32 v118, v96, v118
	v_fmac_f32_e32 v120, 0xbf788fa5, v181
	v_mul_f32_e32 v228, 0x3f6f5d39, v185
	v_add_f32_e32 v2, v132, v2
	v_fmac_f32_e32 v135, 0xbf6f5d39, v136
	v_add_f32_e32 v118, v120, v118
	v_mov_b32_e32 v120, v228
	v_add_f32_e32 v2, v135, v2
	v_fmac_f32_e32 v169, 0x3f7e222b, v170
	v_fmac_f32_e32 v120, 0xbeb58ec6, v184
	v_mul_f32_e32 v229, 0x3eedf032, v188
	v_add_f32_e32 v3, v169, v2
	v_fma_f32 v2, v177, s15, -v180
	v_add_f32_e32 v118, v120, v118
	v_mov_b32_e32 v120, v229
	v_add_f32_e32 v2, v96, v2
	v_fma_f32 v4, v181, s4, -v183
	v_fmac_f32_e32 v120, 0x3f62ad3f, v187
	v_mul_f32_e32 v230, 0xbf52af12, v191
	v_add_f32_e32 v2, v4, v2
	v_fma_f32 v4, v184, s14, -v186
	v_add_f32_e32 v118, v120, v118
	v_mov_b32_e32 v120, v230
	v_add_f32_e32 v2, v4, v2
	v_fma_f32 v4, v187, s5, -v189
	;; [unrolled: 8-line block ×3, first 2 shown]
	v_fmac_f32_e32 v196, 0xbf29c268, v125
	v_fmac_f32_e32 v120, 0xbf3f9e67, v193
	v_mul_f32_e32 v232, 0x3f116cb1, v122
	v_add_f32_e32 v2, v4, v2
	v_add_f32_e32 v4, v97, v196
	v_fmac_f32_e32 v197, 0x3f7e222b, v127
	v_add_f32_e32 v118, v120, v118
	v_mov_b32_e32 v120, v232
	v_mul_f32_e32 v233, 0xbeb58ec6, v123
	v_add_f32_e32 v4, v197, v4
	v_fmac_f32_e32 v198, 0xbf52af12, v130
	v_fmac_f32_e32 v120, 0x3f52af12, v125
	v_mov_b32_e32 v121, v233
	v_add_f32_e32 v4, v198, v4
	v_fmac_f32_e32 v199, 0x3e750f2a, v133
	v_add_f32_e32 v120, v97, v120
	v_fmac_f32_e32 v121, 0x3f6f5d39, v127
	v_mul_f32_e32 v234, 0xbf788fa5, v128
	v_add_f32_e32 v4, v199, v4
	v_fmac_f32_e32 v200, 0x3eedf032, v136
	v_add_f32_e32 v120, v121, v120
	v_mov_b32_e32 v121, v234
	v_add_f32_e32 v4, v200, v4
	v_fmac_f32_e32 v201, 0xbf6f5d39, v170
	v_fmac_f32_e32 v121, 0x3e750f2a, v130
	v_mul_f32_e32 v235, 0xbf3f9e67, v131
	v_add_f32_e32 v5, v201, v4
	v_fma_f32 v4, v177, s14, -v202
	v_add_f32_e32 v120, v121, v120
	v_mov_b32_e32 v121, v235
	v_add_f32_e32 v4, v96, v4
	v_fma_f32 v6, v181, s12, -v203
	v_fmac_f32_e32 v121, 0xbf29c268, v133
	v_mul_f32_e32 v236, 0x3df6dbef, v134
	v_add_f32_e32 v4, v6, v4
	v_fma_f32 v6, v184, s5, -v204
	v_add_f32_e32 v120, v121, v120
	v_mov_b32_e32 v121, v236
	v_add_f32_e32 v4, v6, v4
	v_fma_f32 v6, v187, s15, -v205
	;; [unrolled: 8-line block ×3, first 2 shown]
	v_fmac_f32_e32 v208, 0xbf6f5d39, v125
	v_fmac_f32_e32 v121, 0xbeedf032, v170
	v_mul_f32_e32 v238, 0xbf52af12, v179
	v_add_f32_e32 v4, v6, v4
	v_add_f32_e32 v6, v97, v208
	v_fmac_f32_e32 v209, 0x3f29c268, v127
	v_add_f32_e32 v121, v121, v120
	v_mov_b32_e32 v120, v238
	v_mul_f32_e32 v239, 0xbf6f5d39, v182
	v_add_f32_e32 v6, v209, v6
	v_fmac_f32_e32 v210, 0x3eedf032, v130
	v_fmac_f32_e32 v120, 0x3f116cb1, v177
	v_mov_b32_e32 v240, v239
	v_add_f32_e32 v6, v210, v6
	v_fmac_f32_e32 v211, 0xbf7e222b, v133
	v_add_f32_e32 v120, v96, v120
	v_fmac_f32_e32 v240, 0xbeb58ec6, v181
	;; [unrolled: 2-line block ×3, first 2 shown]
	v_add_f32_e32 v120, v240, v120
	v_mul_f32_e32 v240, 0xbe750f2a, v185
	v_add_f32_e32 v6, v212, v6
	v_fmac_f32_e32 v213, 0x3f52af12, v170
	v_mov_b32_e32 v241, v240
	v_add_f32_e32 v7, v213, v6
	v_fma_f32 v6, v177, s13, -v214
	v_fmac_f32_e32 v241, 0xbf788fa5, v184
	v_add_f32_e32 v6, v96, v6
	v_fma_f32 v98, v181, s14, -v215
	v_add_f32_e32 v120, v241, v120
	v_mul_f32_e32 v241, 0x3f29c268, v188
	v_add_f32_e32 v6, v98, v6
	v_fma_f32 v98, v184, s4, -v216
	v_mov_b32_e32 v242, v241
	v_add_f32_e32 v6, v98, v6
	v_fma_f32 v98, v187, s12, -v217
	v_fmac_f32_e32 v242, 0xbf3f9e67, v187
	v_add_f32_e32 v6, v98, v6
	v_fma_f32 v98, v190, s15, -v218
	v_add_f32_e32 v120, v242, v120
	v_mul_f32_e32 v242, 0x3f7e222b, v191
	v_add_f32_e32 v6, v98, v6
	v_fma_f32 v98, v193, s5, -v219
	v_fmac_f32_e32 v220, 0xbf7e222b, v125
	v_mov_b32_e32 v243, v242
	v_add_f32_e32 v6, v98, v6
	v_add_f32_e32 v98, v97, v220
	v_fmac_f32_e32 v221, 0xbe750f2a, v127
	v_fmac_f32_e32 v243, 0x3df6dbef, v190
	v_add_f32_e32 v98, v221, v98
	v_fmac_f32_e32 v222, 0x3f6f5d39, v130
	v_add_f32_e32 v120, v243, v120
	v_mul_f32_e32 v243, 0x3eedf032, v194
	v_add_f32_e32 v98, v222, v98
	v_fmac_f32_e32 v223, 0x3eedf032, v133
	v_mov_b32_e32 v244, v243
	v_add_f32_e32 v98, v223, v98
	v_fmac_f32_e32 v224, 0xbf52af12, v136
	v_fmac_f32_e32 v244, 0x3f62ad3f, v193
	v_add_f32_e32 v98, v224, v98
	v_fmac_f32_e32 v225, 0xbf29c268, v170
	v_add_f32_e32 v120, v244, v120
	v_mul_f32_e32 v244, 0x3f62ad3f, v122
	v_add_f32_e32 v99, v225, v98
	v_fma_f32 v98, v177, s12, -v226
	v_mov_b32_e32 v122, v244
	v_mul_f32_e32 v245, 0x3f116cb1, v123
	v_add_f32_e32 v98, v96, v98
	v_fma_f32 v100, v181, s15, -v227
	v_fmac_f32_e32 v122, 0x3eedf032, v125
	v_mov_b32_e32 v123, v245
	v_add_f32_e32 v98, v100, v98
	v_fma_f32 v100, v184, s13, -v228
	v_add_f32_e32 v122, v97, v122
	v_fmac_f32_e32 v123, 0x3f52af12, v127
	v_mul_f32_e32 v128, 0x3df6dbef, v128
	v_add_f32_e32 v98, v100, v98
	v_fma_f32 v100, v187, s4, -v229
	v_add_f32_e32 v122, v123, v122
	v_mov_b32_e32 v123, v128
	v_add_f32_e32 v98, v100, v98
	v_fma_f32 v100, v190, s5, -v230
	v_fmac_f32_e32 v123, 0x3f7e222b, v130
	v_mul_f32_e32 v131, 0xbeb58ec6, v131
	v_add_f32_e32 v98, v100, v98
	v_fma_f32 v100, v193, s14, -v231
	v_fmac_f32_e32 v232, 0xbf52af12, v125
	v_add_f32_e32 v122, v123, v122
	v_mov_b32_e32 v123, v131
	v_add_f32_e32 v98, v100, v98
	v_add_f32_e32 v100, v97, v232
	v_fmac_f32_e32 v233, 0xbf6f5d39, v127
	v_fmac_f32_e32 v123, 0x3f6f5d39, v133
	v_mul_f32_e32 v134, 0xbf3f9e67, v134
	v_add_f32_e32 v100, v233, v100
	v_fmac_f32_e32 v234, 0xbe750f2a, v130
	v_add_f32_e32 v122, v123, v122
	v_mov_b32_e32 v123, v134
	v_add_f32_e32 v100, v234, v100
	v_fmac_f32_e32 v235, 0x3f29c268, v133
	v_fmac_f32_e32 v123, 0x3f29c268, v136
	v_mul_f32_e32 v137, 0xbf788fa5, v137
	v_add_f32_e32 v100, v235, v100
	v_fmac_f32_e32 v236, 0x3f7e222b, v136
	v_add_f32_e32 v122, v123, v122
	v_mov_b32_e32 v123, v137
	v_add_f32_e32 v100, v236, v100
	v_fmac_f32_e32 v237, 0x3eedf032, v170
	v_fmac_f32_e32 v123, 0x3e750f2a, v170
	v_mul_f32_e32 v179, 0xbeedf032, v179
	v_add_f32_e32 v101, v237, v100
	v_fma_f32 v100, v177, s5, -v238
	v_add_f32_e32 v123, v123, v122
	v_mov_b32_e32 v122, v179
	v_mul_f32_e32 v182, 0xbf52af12, v182
	v_add_f32_e32 v100, v96, v100
	v_fma_f32 v102, v181, s13, -v239
	v_fmac_f32_e32 v122, 0x3f62ad3f, v177
	v_mov_b32_e32 v246, v182
	v_add_f32_e32 v100, v102, v100
	v_fma_f32 v102, v184, s15, -v240
	v_add_f32_e32 v122, v96, v122
	v_fmac_f32_e32 v246, 0x3f116cb1, v181
	v_mul_f32_e32 v185, 0xbf7e222b, v185
	v_add_f32_e32 v100, v102, v100
	v_fma_f32 v102, v187, s14, -v241
	v_add_f32_e32 v122, v246, v122
	v_mov_b32_e32 v246, v185
	v_add_f32_e32 v100, v102, v100
	v_fma_f32 v102, v190, s12, -v242
	v_fmac_f32_e32 v246, 0x3df6dbef, v184
	v_mul_f32_e32 v188, 0xbf6f5d39, v188
	v_add_f32_e32 v100, v102, v100
	v_fma_f32 v102, v193, s4, -v243
	v_add_f32_e32 v122, v246, v122
	v_mov_b32_e32 v246, v188
	v_add_f32_e32 v100, v102, v100
	v_fma_f32 v102, v177, s4, -v179
	v_fmac_f32_e32 v246, 0xbeb58ec6, v187
	v_mul_f32_e32 v191, 0xbf29c268, v191
	v_fmac_f32_e32 v244, 0xbeedf032, v125
	v_add_f32_e32 v96, v96, v102
	v_fma_f32 v102, v181, s5, -v182
	v_add_f32_e32 v122, v246, v122
	v_mov_b32_e32 v246, v191
	v_add_f32_e32 v97, v97, v244
	v_fmac_f32_e32 v245, 0xbf52af12, v127
	v_add_f32_e32 v96, v102, v96
	v_fma_f32 v102, v184, s12, -v185
	v_fmac_f32_e32 v246, 0xbf3f9e67, v190
	v_mul_f32_e32 v194, 0xbe750f2a, v194
	v_add_f32_e32 v97, v245, v97
	v_fmac_f32_e32 v128, 0xbf7e222b, v130
	v_add_f32_e32 v96, v102, v96
	v_fma_f32 v102, v187, s13, -v188
	v_add_f32_e32 v122, v246, v122
	v_mov_b32_e32 v246, v194
	v_add_f32_e32 v97, v128, v97
	v_fmac_f32_e32 v131, 0xbf6f5d39, v133
	v_add_f32_e32 v96, v102, v96
	v_fma_f32 v102, v190, s14, -v191
	v_fmac_f32_e32 v246, 0xbf788fa5, v193
	v_add_f32_e32 v97, v131, v97
	v_fmac_f32_e32 v134, 0xbf29c268, v136
	v_add_f32_e32 v96, v102, v96
	v_fma_f32 v102, v193, s15, -v194
	v_add_f32_e32 v122, v246, v122
	v_add_f32_e32 v1, v168, v1
	;; [unrolled: 1-line block ×4, first 2 shown]
	v_fmac_f32_e32 v137, 0xbe750f2a, v170
	v_add_f32_e32 v96, v102, v96
	v_lshlrev_b32_e32 v102, 3, v173
	v_add_f32_e32 v97, v137, v97
	ds_write2_b64 v102, v[0:1], v[122:123] offset1:1
	ds_write2_b64 v102, v[120:121], v[118:119] offset0:2 offset1:3
	ds_write2_b64 v102, v[116:117], v[114:115] offset0:4 offset1:5
	;; [unrolled: 1-line block ×5, first 2 shown]
	ds_write_b64 v102, v[96:97] offset:96
.LBB0_13:
	s_or_b64 exec, exec, s[2:3]
	v_mad_u64_u32 v[0:1], s[2:3], s10, v166, 0
	v_add_u32_e32 v97, 0x400, v171
	s_waitcnt lgkmcnt(0)
	s_barrier
	ds_read2_b64 v[103:106], v97 offset0:54 offset1:145
	v_add_u32_e32 v6, 0x1000, v171
	ds_read2_b64 v[107:110], v6 offset0:34 offset1:125
	v_add_u32_e32 v3, 0x1400, v171
	;; [unrolled: 2-line block ×3, first 2 shown]
	v_mad_u64_u32 v[1:2], s[2:3], s11, v166, v[1:2]
	ds_read2_b64 v[115:118], v96 offset0:68 offset1:159
	v_add_u32_e32 v5, 0x2400, v171
	ds_read2_b64 v[119:122], v5 offset0:122 offset1:213
	v_add_u32_e32 v2, 0x3000, v171
	;; [unrolled: 2-line block ×3, first 2 shown]
	s_waitcnt lgkmcnt(5)
	v_mul_f32_e32 v137, v17, v106
	v_mul_f32_e32 v17, v17, v105
	ds_read2_b64 v[127:130], v7 offset0:108 offset1:199
	v_fmac_f32_e32 v137, v16, v105
	v_fma_f32 v16, v16, v106, -v17
	s_waitcnt lgkmcnt(5)
	v_mul_f32_e32 v17, v19, v108
	v_mul_f32_e32 v19, v19, v107
	v_add_u32_e32 v98, 0x1800, v171
	v_fmac_f32_e32 v17, v18, v107
	v_fma_f32 v18, v18, v108, -v19
	s_waitcnt lgkmcnt(4)
	v_mul_f32_e32 v19, v9, v114
	v_mul_f32_e32 v9, v9, v113
	ds_read2_b64 v[131:134], v98 offset0:142 offset1:233
	v_fmac_f32_e32 v19, v8, v113
	v_fma_f32 v8, v8, v114, -v9
	s_waitcnt lgkmcnt(4)
	v_mul_f32_e32 v9, v11, v116
	v_mul_f32_e32 v11, v11, v115
	v_add_u32_e32 v4, 0x2c00, v171
	v_fmac_f32_e32 v9, v10, v115
	v_fma_f32 v10, v10, v116, -v11
	s_waitcnt lgkmcnt(3)
	v_mul_f32_e32 v11, v33, v122
	v_mul_f32_e32 v33, v33, v121
	ds_read2_b64 v[99:102], v171 offset1:91
	ds_read2_b64 v[166:169], v4 offset0:48 offset1:139
	ds_read_b64 v[135:136], v171 offset:14560
	v_fmac_f32_e32 v11, v32, v121
	v_fma_f32 v32, v32, v122, -v33
	s_waitcnt lgkmcnt(5)
	v_mul_f32_e32 v33, v35, v124
	v_mul_f32_e32 v35, v35, v123
	v_fmac_f32_e32 v33, v34, v123
	v_fma_f32 v34, v34, v124, -v35
	s_waitcnt lgkmcnt(4)
	v_mul_f32_e32 v35, v25, v128
	v_mul_f32_e32 v25, v25, v127
	v_fmac_f32_e32 v35, v24, v127
	v_fma_f32 v24, v24, v128, -v25
	v_mul_f32_e32 v25, v27, v110
	v_mul_f32_e32 v27, v27, v109
	v_fmac_f32_e32 v25, v26, v109
	v_fma_f32 v26, v26, v110, -v27
	s_waitcnt lgkmcnt(3)
	v_mul_f32_e32 v27, v21, v132
	v_mul_f32_e32 v21, v21, v131
	v_fmac_f32_e32 v27, v20, v131
	v_fma_f32 v105, v20, v132, -v21
	v_mul_f32_e32 v106, v23, v118
	v_mul_f32_e32 v20, v23, v117
	s_waitcnt lgkmcnt(1)
	v_mul_f32_e32 v23, v13, v167
	v_mul_f32_e32 v13, v13, v166
	v_fmac_f32_e32 v23, v12, v166
	v_fma_f32 v107, v12, v167, -v13
	v_mul_f32_e32 v12, v15, v125
	v_fma_f32 v109, v14, v126, -v12
	v_mul_f32_e32 v110, v41, v130
	v_mul_f32_e32 v12, v41, v129
	v_fmac_f32_e32 v110, v40, v129
	v_fma_f32 v40, v40, v130, -v12
	v_mul_f32_e32 v41, v43, v112
	v_mul_f32_e32 v12, v43, v111
	v_fmac_f32_e32 v41, v42, v111
	;; [unrolled: 4-line block ×4, first 2 shown]
	v_fma_f32 v38, v38, v120, -v12
	v_mul_f32_e32 v12, v29, v168
	v_fma_f32 v111, v28, v169, -v12
	s_waitcnt lgkmcnt(0)
	v_mul_f32_e32 v12, v31, v135
	v_mul_f32_e32 v108, v15, v126
	v_fma_f32 v113, v30, v136, -v12
	v_add_f32_e32 v12, v137, v33
	v_add_f32_e32 v13, v16, v34
	v_sub_f32_e32 v15, v16, v34
	v_add_f32_e32 v16, v17, v11
	v_fmac_f32_e32 v106, v22, v117
	v_fma_f32 v22, v22, v118, -v20
	v_add_f32_e32 v20, v18, v32
	v_sub_f32_e32 v11, v17, v11
	v_sub_f32_e32 v17, v18, v32
	v_add_f32_e32 v18, v19, v9
	v_add_f32_e32 v21, v8, v10
	v_sub_f32_e32 v8, v10, v8
	v_add_f32_e32 v10, v16, v12
	v_mul_f32_e32 v39, v29, v169
	v_sub_f32_e32 v9, v9, v19
	v_add_f32_e32 v19, v20, v13
	v_add_f32_e32 v10, v18, v10
	v_fmac_f32_e32 v108, v14, v125
	v_fmac_f32_e32 v39, v28, v168
	v_mul_f32_e32 v112, v31, v136
	v_sub_f32_e32 v14, v137, v33
	v_sub_f32_e32 v28, v16, v12
	;; [unrolled: 1-line block ×4, first 2 shown]
	v_add_f32_e32 v31, v8, v17
	v_sub_f32_e32 v33, v8, v17
	v_sub_f32_e32 v114, v15, v8
	v_add_f32_e32 v18, v21, v19
	v_add_f32_e32 v8, v99, v10
	v_fmac_f32_e32 v112, v30, v135
	v_sub_f32_e32 v29, v20, v13
	v_sub_f32_e32 v13, v13, v21
	;; [unrolled: 1-line block ×3, first 2 shown]
	v_add_f32_e32 v30, v9, v11
	v_sub_f32_e32 v32, v9, v11
	v_sub_f32_e32 v34, v14, v9
	;; [unrolled: 1-line block ×3, first 2 shown]
	v_add_f32_e32 v9, v100, v18
	v_mov_b32_e32 v99, v8
	v_sub_f32_e32 v17, v17, v15
	v_add_f32_e32 v14, v30, v14
	v_add_f32_e32 v15, v31, v15
	v_mul_f32_e32 v12, 0x3f4a47b2, v12
	v_mul_f32_e32 v13, 0x3f4a47b2, v13
	;; [unrolled: 1-line block ×6, first 2 shown]
	s_mov_b32 s2, 0xbf5ff5aa
	v_mul_f32_e32 v32, 0xbf5ff5aa, v11
	v_fmac_f32_e32 v99, 0xbf955555, v10
	v_mov_b32_e32 v10, v9
	s_mov_b32 s4, 0x3f3bfb3b
	s_mov_b32 s3, 0xbf3bfb3b
	;; [unrolled: 1-line block ×3, first 2 shown]
	v_mul_f32_e32 v33, 0xbf5ff5aa, v17
	v_fmac_f32_e32 v10, 0xbf955555, v18
	v_fma_f32 v18, v28, s4, -v19
	v_fma_f32 v19, v29, s4, -v21
	;; [unrolled: 1-line block ×3, first 2 shown]
	v_fmac_f32_e32 v12, 0x3d64c772, v16
	v_fma_f32 v16, v29, s3, -v13
	v_fmac_f32_e32 v13, 0x3d64c772, v20
	v_fma_f32 v20, v11, s2, -v30
	v_fma_f32 v17, v17, s2, -v31
	v_fmac_f32_e32 v31, 0xbeae86e6, v114
	v_fma_f32 v28, v34, s5, -v32
	v_fmac_f32_e32 v30, 0xbeae86e6, v34
	v_fma_f32 v29, v114, s5, -v33
	v_add_f32_e32 v32, v12, v99
	v_add_f32_e32 v18, v18, v99
	;; [unrolled: 1-line block ×4, first 2 shown]
	v_fmac_f32_e32 v31, 0xbee1c552, v15
	v_fmac_f32_e32 v20, 0xbee1c552, v14
	;; [unrolled: 1-line block ×4, first 2 shown]
	v_add_f32_e32 v33, v13, v10
	v_add_f32_e32 v21, v21, v99
	v_fmac_f32_e32 v30, 0xbee1c552, v14
	v_fmac_f32_e32 v29, 0xbee1c552, v15
	v_add_f32_e32 v10, v31, v32
	v_sub_f32_e32 v13, v34, v28
	v_sub_f32_e32 v14, v18, v17
	v_add_f32_e32 v15, v20, v19
	v_add_f32_e32 v16, v17, v18
	v_sub_f32_e32 v17, v19, v20
	v_add_f32_e32 v19, v28, v34
	v_sub_f32_e32 v20, v32, v31
	v_add_f32_e32 v28, v35, v108
	v_add_f32_e32 v31, v25, v23
	;; [unrolled: 1-line block ×3, first 2 shown]
	v_sub_f32_e32 v18, v21, v29
	v_add_f32_e32 v29, v24, v109
	v_add_f32_e32 v32, v26, v107
	v_sub_f32_e32 v23, v25, v23
	v_sub_f32_e32 v25, v26, v107
	v_add_f32_e32 v26, v27, v106
	v_add_f32_e32 v34, v31, v28
	v_sub_f32_e32 v11, v33, v30
	v_add_f32_e32 v21, v30, v33
	v_sub_f32_e32 v30, v35, v108
	v_sub_f32_e32 v24, v24, v109
	v_add_f32_e32 v33, v105, v22
	v_sub_f32_e32 v27, v106, v27
	v_sub_f32_e32 v22, v22, v105
	v_add_f32_e32 v35, v32, v29
	v_sub_f32_e32 v99, v31, v28
	v_sub_f32_e32 v28, v28, v26
	v_sub_f32_e32 v31, v26, v31
	v_add_f32_e32 v26, v26, v34
	v_sub_f32_e32 v100, v32, v29
	v_sub_f32_e32 v29, v29, v33
	;; [unrolled: 1-line block ×3, first 2 shown]
	v_add_f32_e32 v106, v22, v25
	v_sub_f32_e32 v107, v27, v23
	v_sub_f32_e32 v108, v22, v25
	;; [unrolled: 1-line block ×3, first 2 shown]
	v_add_f32_e32 v33, v33, v35
	v_add_f32_e32 v22, v101, v26
	;; [unrolled: 1-line block ×3, first 2 shown]
	v_sub_f32_e32 v114, v23, v30
	v_add_f32_e32 v23, v102, v33
	v_mul_f32_e32 v101, 0x3f08b237, v107
	v_mov_b32_e32 v107, v22
	v_sub_f32_e32 v25, v25, v24
	v_mul_f32_e32 v28, 0x3f4a47b2, v28
	v_mul_f32_e32 v29, 0x3f4a47b2, v29
	;; [unrolled: 1-line block ×5, first 2 shown]
	v_fmac_f32_e32 v107, 0xbf955555, v26
	v_mov_b32_e32 v26, v23
	v_sub_f32_e32 v27, v30, v27
	v_add_f32_e32 v30, v105, v30
	v_add_f32_e32 v24, v106, v24
	v_mul_f32_e32 v105, 0xbf5ff5aa, v114
	v_mul_f32_e32 v106, 0xbf5ff5aa, v25
	v_fmac_f32_e32 v26, 0xbf955555, v33
	v_fma_f32 v33, v99, s4, -v34
	v_fma_f32 v34, v100, s4, -v35
	;; [unrolled: 1-line block ×3, first 2 shown]
	v_fmac_f32_e32 v28, 0x3d64c772, v31
	v_fma_f32 v31, v100, s3, -v29
	v_fmac_f32_e32 v29, 0x3d64c772, v32
	v_fma_f32 v32, v114, s2, -v101
	v_fma_f32 v99, v25, s2, -v102
	v_fmac_f32_e32 v102, 0xbeae86e6, v109
	v_fmac_f32_e32 v101, 0xbeae86e6, v27
	v_fma_f32 v100, v27, s5, -v105
	v_fma_f32 v105, v109, s5, -v106
	v_add_f32_e32 v106, v28, v107
	v_add_f32_e32 v33, v33, v107
	;; [unrolled: 1-line block ×3, first 2 shown]
	v_fmac_f32_e32 v102, 0xbee1c552, v24
	v_fmac_f32_e32 v32, 0xbee1c552, v30
	;; [unrolled: 1-line block ×3, first 2 shown]
	v_add_f32_e32 v108, v29, v26
	v_add_f32_e32 v35, v35, v107
	;; [unrolled: 1-line block ×3, first 2 shown]
	v_fmac_f32_e32 v101, 0xbee1c552, v30
	v_fmac_f32_e32 v100, 0xbee1c552, v30
	;; [unrolled: 1-line block ×3, first 2 shown]
	v_add_f32_e32 v24, v102, v106
	v_sub_f32_e32 v28, v33, v99
	v_add_f32_e32 v29, v32, v34
	v_add_f32_e32 v30, v99, v33
	v_sub_f32_e32 v31, v34, v32
	v_sub_f32_e32 v34, v106, v102
	v_add_f32_e32 v99, v110, v112
	v_add_f32_e32 v102, v41, v39
	v_add_f32_e32 v26, v105, v35
	v_sub_f32_e32 v27, v107, v100
	v_sub_f32_e32 v32, v35, v105
	v_add_f32_e32 v33, v100, v107
	;; [unrolled: 5-line block ×3, first 2 shown]
	v_add_f32_e32 v106, v36, v38
	v_sub_f32_e32 v36, v38, v36
	v_add_f32_e32 v38, v102, v99
	v_sub_f32_e32 v40, v40, v113
	v_sub_f32_e32 v37, v37, v43
	v_add_f32_e32 v43, v105, v100
	v_add_f32_e32 v38, v42, v38
	v_sub_f32_e32 v25, v108, v101
	v_add_f32_e32 v35, v101, v108
	v_sub_f32_e32 v101, v110, v112
	v_sub_f32_e32 v107, v102, v99
	;; [unrolled: 1-line block ×4, first 2 shown]
	v_add_f32_e32 v110, v36, v41
	v_sub_f32_e32 v111, v37, v39
	v_sub_f32_e32 v112, v36, v41
	;; [unrolled: 1-line block ×3, first 2 shown]
	v_add_f32_e32 v42, v106, v43
	v_add_f32_e32 v36, v103, v38
	v_sub_f32_e32 v108, v105, v100
	v_sub_f32_e32 v100, v100, v106
	;; [unrolled: 1-line block ×3, first 2 shown]
	v_add_f32_e32 v109, v37, v39
	v_sub_f32_e32 v113, v101, v37
	v_sub_f32_e32 v39, v39, v101
	;; [unrolled: 1-line block ×3, first 2 shown]
	v_add_f32_e32 v37, v104, v42
	v_mul_f32_e32 v104, 0x3f08b237, v111
	v_mov_b32_e32 v111, v36
	v_add_f32_e32 v43, v109, v101
	v_add_f32_e32 v40, v110, v40
	v_mul_f32_e32 v99, 0x3f4a47b2, v99
	v_mul_f32_e32 v100, 0x3f4a47b2, v100
	;; [unrolled: 1-line block ×7, first 2 shown]
	v_fmac_f32_e32 v111, 0xbf955555, v38
	v_mov_b32_e32 v38, v37
	v_fmac_f32_e32 v38, 0xbf955555, v42
	v_fma_f32 v42, v107, s4, -v101
	v_fma_f32 v101, v108, s4, -v103
	;; [unrolled: 1-line block ×3, first 2 shown]
	v_fmac_f32_e32 v99, 0x3d64c772, v102
	v_fma_f32 v102, v108, s3, -v100
	v_fmac_f32_e32 v100, 0x3d64c772, v105
	v_fma_f32 v105, v39, s2, -v104
	;; [unrolled: 2-line block ×4, first 2 shown]
	v_fma_f32 v109, v114, s5, -v110
	v_add_f32_e32 v110, v99, v111
	v_add_f32_e32 v112, v100, v38
	;; [unrolled: 1-line block ×6, first 2 shown]
	v_fmac_f32_e32 v104, 0xbee1c552, v43
	v_fmac_f32_e32 v106, 0xbee1c552, v40
	;; [unrolled: 1-line block ×6, first 2 shown]
	v_add_f32_e32 v38, v106, v110
	v_sub_f32_e32 v39, v112, v104
	v_add_f32_e32 v40, v109, v101
	v_sub_f32_e32 v41, v102, v108
	v_sub_f32_e32 v42, v99, v107
	v_add_f32_e32 v43, v105, v100
	v_add_f32_e32 v99, v107, v99
	v_sub_f32_e32 v100, v100, v105
	v_sub_f32_e32 v101, v101, v109
	v_add_f32_e32 v102, v108, v102
	v_sub_f32_e32 v103, v110, v106
	v_add_f32_e32 v104, v104, v112
	s_barrier
	ds_write2_b64 v174, v[8:9], v[10:11] offset1:13
	ds_write2_b64 v174, v[12:13], v[14:15] offset0:26 offset1:39
	ds_write2_b64 v174, v[16:17], v[18:19] offset0:52 offset1:65
	ds_write_b64 v174, v[20:21] offset:624
	ds_write2_b64 v175, v[22:23], v[24:25] offset1:13
	ds_write2_b64 v175, v[26:27], v[28:29] offset0:26 offset1:39
	ds_write2_b64 v175, v[30:31], v[32:33] offset0:52 offset1:65
	ds_write_b64 v175, v[34:35] offset:624
	;; [unrolled: 4-line block ×3, first 2 shown]
	s_waitcnt lgkmcnt(0)
	s_barrier
	ds_read2_b64 v[8:11], v171 offset1:91
	ds_read2_b64 v[12:15], v97 offset0:54 offset1:145
	ds_read2_b64 v[16:19], v6 offset0:34 offset1:125
	;; [unrolled: 1-line block ×9, first 2 shown]
	ds_read_b64 v[103:104], v171 offset:14560
	s_waitcnt lgkmcnt(9)
	v_mul_f32_e32 v105, v53, v15
	v_fmac_f32_e32 v105, v52, v14
	v_mul_f32_e32 v14, v53, v14
	v_fma_f32 v14, v52, v15, -v14
	s_waitcnt lgkmcnt(8)
	v_mul_f32_e32 v15, v55, v17
	v_fmac_f32_e32 v15, v54, v16
	v_mul_f32_e32 v16, v55, v16
	v_fma_f32 v16, v54, v17, -v16
	;; [unrolled: 5-line block ×7, first 2 shown]
	v_mul_f32_e32 v37, v55, v19
	v_fmac_f32_e32 v37, v54, v18
	v_mul_f32_e32 v18, v55, v18
	v_fma_f32 v52, v54, v19, -v18
	s_waitcnt lgkmcnt(2)
	v_mul_f32_e32 v53, v49, v41
	v_mul_f32_e32 v18, v49, v40
	v_fmac_f32_e32 v53, v48, v40
	v_fma_f32 v40, v48, v41, -v18
	v_mul_f32_e32 v41, v51, v27
	v_mul_f32_e32 v18, v51, v26
	v_fmac_f32_e32 v41, v50, v26
	v_fma_f32 v26, v50, v27, -v18
	s_waitcnt lgkmcnt(1)
	v_mul_f32_e32 v27, v45, v100
	v_mul_f32_e32 v18, v45, v99
	v_fmac_f32_e32 v27, v44, v99
	v_fma_f32 v44, v44, v100, -v18
	v_mul_f32_e32 v45, v47, v35
	v_mul_f32_e32 v18, v47, v34
	v_fmac_f32_e32 v45, v46, v34
	v_fma_f32 v34, v46, v35, -v18
	;; [unrolled: 4-line block ×3, first 2 shown]
	v_mul_f32_e32 v18, v67, v20
	v_fma_f32 v47, v66, v21, -v18
	v_mul_f32_e32 v48, v61, v43
	v_mul_f32_e32 v18, v61, v42
	v_fmac_f32_e32 v48, v60, v42
	v_fma_f32 v42, v60, v43, -v18
	v_mul_f32_e32 v18, v63, v28
	v_fma_f32 v49, v62, v29, -v18
	v_mul_f32_e32 v18, v57, v101
	v_fma_f32 v51, v56, v102, -v18
	s_waitcnt lgkmcnt(0)
	v_mul_f32_e32 v18, v59, v103
	v_mul_f32_e32 v39, v67, v21
	;; [unrolled: 1-line block ×3, first 2 shown]
	v_fma_f32 v55, v58, v104, -v18
	v_add_f32_e32 v18, v105, v31
	v_add_f32_e32 v21, v15, v25
	v_fmac_f32_e32 v43, v62, v28
	v_add_f32_e32 v19, v14, v32
	v_add_f32_e32 v28, v16, v30
	v_sub_f32_e32 v15, v15, v25
	v_add_f32_e32 v25, v17, v23
	v_sub_f32_e32 v17, v23, v17
	v_add_f32_e32 v23, v21, v18
	v_add_f32_e32 v29, v22, v24
	v_sub_f32_e32 v22, v24, v22
	v_add_f32_e32 v24, v28, v19
	v_add_f32_e32 v23, v25, v23
	v_mul_f32_e32 v50, v57, v102
	v_mul_f32_e32 v54, v59, v104
	v_add_f32_e32 v24, v29, v24
	v_add_f32_e32 v8, v8, v23
	v_fmac_f32_e32 v39, v66, v20
	v_fmac_f32_e32 v50, v56, v101
	;; [unrolled: 1-line block ×3, first 2 shown]
	v_sub_f32_e32 v20, v105, v31
	v_sub_f32_e32 v14, v14, v32
	;; [unrolled: 1-line block ×9, first 2 shown]
	v_add_f32_e32 v32, v17, v15
	v_sub_f32_e32 v56, v17, v15
	v_add_f32_e32 v9, v9, v24
	v_mov_b32_e32 v58, v8
	v_add_f32_e32 v35, v22, v16
	v_sub_f32_e32 v57, v22, v16
	v_sub_f32_e32 v17, v20, v17
	;; [unrolled: 1-line block ×4, first 2 shown]
	v_add_f32_e32 v20, v32, v20
	v_mul_f32_e32 v18, 0x3f4a47b2, v18
	v_mul_f32_e32 v19, 0x3f4a47b2, v19
	;; [unrolled: 1-line block ×5, first 2 shown]
	v_fmac_f32_e32 v58, 0xbf955555, v23
	v_mov_b32_e32 v23, v9
	v_sub_f32_e32 v22, v14, v22
	v_add_f32_e32 v14, v35, v14
	v_mul_f32_e32 v35, 0x3f08b237, v57
	v_mul_f32_e32 v56, 0xbf5ff5aa, v15
	;; [unrolled: 1-line block ×3, first 2 shown]
	v_fmac_f32_e32 v23, 0xbf955555, v24
	v_fma_f32 v24, v30, s4, -v25
	v_fma_f32 v25, v31, s4, -v29
	;; [unrolled: 1-line block ×3, first 2 shown]
	v_fmac_f32_e32 v18, 0x3d64c772, v21
	v_fma_f32 v21, v31, s3, -v19
	v_fmac_f32_e32 v19, 0x3d64c772, v28
	v_fma_f32 v28, v15, s2, -v32
	;; [unrolled: 2-line block ×4, first 2 shown]
	v_fma_f32 v22, v22, s5, -v57
	v_add_f32_e32 v57, v19, v23
	v_add_f32_e32 v25, v25, v23
	v_fmac_f32_e32 v32, 0xbee1c552, v20
	v_fmac_f32_e32 v28, 0xbee1c552, v20
	v_add_f32_e32 v56, v18, v58
	v_add_f32_e32 v24, v24, v58
	;; [unrolled: 1-line block ×4, first 2 shown]
	v_fmac_f32_e32 v35, 0xbee1c552, v14
	v_fmac_f32_e32 v30, 0xbee1c552, v14
	;; [unrolled: 1-line block ×4, first 2 shown]
	v_sub_f32_e32 v15, v57, v32
	v_add_f32_e32 v19, v28, v25
	v_sub_f32_e32 v21, v25, v28
	v_add_f32_e32 v25, v32, v57
	v_add_f32_e32 v28, v33, v45
	;; [unrolled: 1-line block ×5, first 2 shown]
	v_sub_f32_e32 v17, v23, v31
	v_sub_f32_e32 v18, v24, v30
	v_add_f32_e32 v20, v30, v24
	v_sub_f32_e32 v22, v29, v22
	v_add_f32_e32 v23, v31, v23
	;; [unrolled: 2-line block ×3, first 2 shown]
	v_sub_f32_e32 v30, v33, v45
	v_sub_f32_e32 v31, v36, v34
	v_add_f32_e32 v33, v52, v44
	v_add_f32_e32 v35, v53, v41
	;; [unrolled: 1-line block ×3, first 2 shown]
	v_sub_f32_e32 v26, v26, v40
	v_add_f32_e32 v40, v32, v28
	v_sub_f32_e32 v27, v37, v27
	v_sub_f32_e32 v34, v52, v44
	v_sub_f32_e32 v37, v41, v53
	v_add_f32_e32 v41, v33, v29
	v_sub_f32_e32 v44, v32, v28
	v_sub_f32_e32 v28, v28, v35
	;; [unrolled: 4-line block ×3, first 2 shown]
	v_sub_f32_e32 v33, v36, v33
	v_add_f32_e32 v36, v36, v41
	v_add_f32_e32 v10, v10, v35
	;; [unrolled: 1-line block ×4, first 2 shown]
	v_sub_f32_e32 v56, v37, v27
	v_sub_f32_e32 v57, v26, v34
	v_add_f32_e32 v11, v11, v36
	v_mov_b32_e32 v58, v10
	v_sub_f32_e32 v37, v30, v37
	v_sub_f32_e32 v26, v31, v26
	;; [unrolled: 1-line block ×4, first 2 shown]
	v_add_f32_e32 v30, v52, v30
	v_add_f32_e32 v31, v53, v31
	v_mul_f32_e32 v28, 0x3f4a47b2, v28
	v_mul_f32_e32 v29, 0x3f4a47b2, v29
	;; [unrolled: 1-line block ×6, first 2 shown]
	v_fmac_f32_e32 v58, 0xbf955555, v35
	v_mov_b32_e32 v35, v11
	v_mul_f32_e32 v56, 0xbf5ff5aa, v27
	v_mul_f32_e32 v57, 0xbf5ff5aa, v34
	v_fmac_f32_e32 v35, 0xbf955555, v36
	v_fma_f32 v36, v44, s4, -v40
	v_fma_f32 v40, v45, s4, -v41
	;; [unrolled: 1-line block ×3, first 2 shown]
	v_fmac_f32_e32 v28, 0x3d64c772, v32
	v_fma_f32 v32, v45, s3, -v29
	v_fmac_f32_e32 v29, 0x3d64c772, v33
	v_fma_f32 v33, v27, s2, -v52
	v_fma_f32 v34, v34, s2, -v53
	v_fmac_f32_e32 v53, 0xbeae86e6, v26
	v_fmac_f32_e32 v52, 0xbeae86e6, v37
	v_fma_f32 v37, v37, s5, -v56
	v_fma_f32 v44, v26, s5, -v57
	v_add_f32_e32 v45, v28, v58
	v_add_f32_e32 v36, v36, v58
	;; [unrolled: 1-line block ×3, first 2 shown]
	v_fmac_f32_e32 v53, 0xbee1c552, v31
	v_fmac_f32_e32 v33, 0xbee1c552, v30
	;; [unrolled: 1-line block ×3, first 2 shown]
	v_add_f32_e32 v56, v29, v35
	v_add_f32_e32 v41, v41, v58
	v_add_f32_e32 v35, v32, v35
	v_fmac_f32_e32 v52, 0xbee1c552, v30
	v_fmac_f32_e32 v37, 0xbee1c552, v30
	;; [unrolled: 1-line block ×3, first 2 shown]
	v_add_f32_e32 v26, v53, v45
	v_sub_f32_e32 v30, v36, v34
	v_add_f32_e32 v31, v33, v40
	v_add_f32_e32 v32, v34, v36
	v_sub_f32_e32 v33, v40, v33
	v_sub_f32_e32 v36, v45, v53
	v_add_f32_e32 v40, v46, v54
	v_add_f32_e32 v45, v39, v50
	v_add_f32_e32 v28, v44, v41
	v_sub_f32_e32 v34, v41, v44
	v_add_f32_e32 v41, v38, v55
	v_sub_f32_e32 v44, v46, v54
	v_add_f32_e32 v46, v47, v51
	;; [unrolled: 2-line block ×6, first 2 shown]
	v_add_f32_e32 v48, v50, v48
	v_add_f32_e32 v49, v51, v49
	;; [unrolled: 1-line block ×3, first 2 shown]
	v_sub_f32_e32 v27, v56, v52
	v_sub_f32_e32 v29, v35, v37
	v_add_f32_e32 v35, v37, v35
	v_add_f32_e32 v37, v52, v56
	v_sub_f32_e32 v38, v38, v55
	v_sub_f32_e32 v52, v45, v40
	;; [unrolled: 1-line block ×7, first 2 shown]
	v_add_f32_e32 v54, v43, v39
	v_add_f32_e32 v55, v42, v47
	v_sub_f32_e32 v56, v43, v39
	v_sub_f32_e32 v57, v42, v47
	v_add_f32_e32 v13, v13, v49
	v_mov_b32_e32 v58, v12
	v_sub_f32_e32 v43, v44, v43
	v_sub_f32_e32 v42, v38, v42
	;; [unrolled: 1-line block ×4, first 2 shown]
	v_add_f32_e32 v44, v54, v44
	v_add_f32_e32 v38, v55, v38
	v_mul_f32_e32 v40, 0x3f4a47b2, v40
	v_mul_f32_e32 v41, 0x3f4a47b2, v41
	;; [unrolled: 1-line block ×6, first 2 shown]
	v_fmac_f32_e32 v58, 0xbf955555, v48
	v_mov_b32_e32 v48, v13
	v_mul_f32_e32 v56, 0xbf5ff5aa, v39
	v_mul_f32_e32 v57, 0xbf5ff5aa, v47
	v_fmac_f32_e32 v48, 0xbf955555, v49
	v_fma_f32 v49, v52, s4, -v50
	v_fma_f32 v50, v53, s4, -v51
	;; [unrolled: 1-line block ×3, first 2 shown]
	v_fmac_f32_e32 v40, 0x3d64c772, v45
	v_fma_f32 v45, v53, s3, -v41
	v_fmac_f32_e32 v41, 0x3d64c772, v46
	v_fma_f32 v46, v39, s2, -v54
	;; [unrolled: 2-line block ×4, first 2 shown]
	v_fma_f32 v53, v42, s5, -v57
	v_add_f32_e32 v56, v40, v58
	v_add_f32_e32 v57, v41, v48
	v_fmac_f32_e32 v54, 0xbee1c552, v44
	v_fmac_f32_e32 v55, 0xbee1c552, v38
	v_add_f32_e32 v49, v49, v58
	v_add_f32_e32 v50, v50, v48
	;; [unrolled: 1-line block ×4, first 2 shown]
	v_fmac_f32_e32 v46, 0xbee1c552, v44
	v_fmac_f32_e32 v47, 0xbee1c552, v38
	;; [unrolled: 1-line block ×4, first 2 shown]
	v_add_f32_e32 v38, v55, v56
	v_sub_f32_e32 v39, v57, v54
	s_barrier
	ds_write2_b64 v171, v[8:9], v[14:15] offset1:91
	ds_write2_b64 v97, v[16:17], v[18:19] offset0:54 offset1:145
	ds_write2_b64 v7, v[20:21], v[22:23] offset0:108 offset1:199
	;; [unrolled: 1-line block ×6, first 2 shown]
	v_add_u32_e32 v8, 0x2400, v178
	v_add_f32_e32 v40, v53, v51
	v_sub_f32_e32 v41, v48, v52
	v_sub_f32_e32 v42, v49, v47
	v_add_f32_e32 v43, v46, v50
	ds_write2_b64 v8, v[12:13], v[38:39] offset0:122 offset1:213
	v_add_u32_e32 v8, 0x2c00, v178
	v_add_f32_e32 v44, v47, v49
	v_sub_f32_e32 v45, v50, v46
	v_sub_f32_e32 v46, v51, v53
	v_add_f32_e32 v47, v52, v48
	v_sub_f32_e32 v48, v56, v55
	v_add_f32_e32 v49, v54, v57
	ds_write2_b64 v8, v[40:41], v[42:43] offset0:48 offset1:139
	v_add_u32_e32 v8, 0x3000, v178
	ds_write2_b64 v8, v[44:45], v[46:47] offset0:102 offset1:193
	ds_write_b64 v178, v[48:49] offset:14560
	s_waitcnt lgkmcnt(0)
	s_barrier
	ds_read2_b64 v[8:11], v171 offset1:91
	ds_read2_b64 v[12:15], v6 offset0:34 offset1:125
	ds_read2_b64 v[16:19], v5 offset0:122 offset1:213
	;; [unrolled: 1-line block ×9, first 2 shown]
	ds_read_b64 v[48:49], v171 offset:14560
	s_waitcnt lgkmcnt(9)
	v_mul_f32_e32 v50, v73, v15
	v_fmac_f32_e32 v50, v72, v14
	v_mul_f32_e32 v14, v73, v14
	v_fma_f32 v51, v72, v15, -v14
	s_waitcnt lgkmcnt(8)
	v_mul_f32_e32 v14, v75, v16
	v_mul_f32_e32 v52, v75, v17
	v_fma_f32 v17, v74, v17, -v14
	s_waitcnt lgkmcnt(7)
	v_mul_f32_e32 v14, v69, v20
	v_mul_f32_e32 v53, v69, v21
	v_fma_f32 v21, v68, v21, -v14
	v_mul_f32_e32 v14, v71, v18
	v_fma_f32 v55, v70, v19, -v14
	;; [unrolled: 2-line block ×3, first 2 shown]
	s_waitcnt lgkmcnt(5)
	v_mul_f32_e32 v14, v79, v28
	v_mul_f32_e32 v58, v79, v29
	v_fma_f32 v29, v78, v29, -v14
	s_waitcnt lgkmcnt(4)
	v_mul_f32_e32 v14, v81, v32
	v_mul_f32_e32 v59, v81, v33
	v_fma_f32 v33, v80, v33, -v14
	v_mul_f32_e32 v14, v83, v30
	v_fma_f32 v61, v82, v31, -v14
	;; [unrolled: 2-line block ×3, first 2 shown]
	s_waitcnt lgkmcnt(2)
	v_mul_f32_e32 v14, v87, v40
	v_mul_f32_e32 v64, v87, v41
	v_fma_f32 v41, v86, v41, -v14
	s_waitcnt lgkmcnt(1)
	v_mul_f32_e32 v14, v89, v44
	v_mul_f32_e32 v65, v89, v45
	v_fma_f32 v45, v88, v45, -v14
	v_mul_f32_e32 v14, v91, v42
	v_fmac_f32_e32 v52, v74, v16
	v_fma_f32 v67, v90, v43, -v14
	v_mul_f32_e32 v14, v93, v46
	v_mul_f32_e32 v54, v71, v19
	v_fma_f32 v69, v92, v47, -v14
	s_waitcnt lgkmcnt(0)
	v_mul_f32_e32 v14, v95, v48
	v_add_f32_e32 v15, v50, v52
	v_fmac_f32_e32 v54, v70, v18
	v_mul_f32_e32 v70, v95, v49
	v_fma_f32 v49, v94, v49, -v14
	v_add_f32_e32 v14, v8, v50
	v_fma_f32 v8, -0.5, v15, v8
	v_sub_f32_e32 v15, v51, v17
	v_mov_b32_e32 v16, v8
	v_fmac_f32_e32 v16, 0xbf5db3d7, v15
	v_fmac_f32_e32 v8, 0x3f5db3d7, v15
	v_add_f32_e32 v15, v9, v51
	v_add_f32_e32 v15, v15, v17
	;; [unrolled: 1-line block ×3, first 2 shown]
	v_fmac_f32_e32 v53, v68, v20
	v_fma_f32 v9, -0.5, v17, v9
	v_sub_f32_e32 v18, v50, v52
	v_mov_b32_e32 v17, v9
	v_add_f32_e32 v19, v53, v54
	v_fmac_f32_e32 v17, 0x3f5db3d7, v18
	v_fmac_f32_e32 v9, 0xbf5db3d7, v18
	v_add_f32_e32 v18, v10, v53
	v_fma_f32 v10, -0.5, v19, v10
	v_sub_f32_e32 v19, v21, v55
	v_mov_b32_e32 v20, v10
	v_mul_f32_e32 v56, v77, v23
	v_fmac_f32_e32 v20, 0xbf5db3d7, v19
	v_fmac_f32_e32 v10, 0x3f5db3d7, v19
	v_add_f32_e32 v19, v11, v21
	v_add_f32_e32 v21, v21, v55
	v_fmac_f32_e32 v56, v76, v22
	v_fmac_f32_e32 v58, v78, v28
	v_fmac_f32_e32 v11, -0.5, v21
	v_sub_f32_e32 v22, v53, v54
	v_mov_b32_e32 v21, v11
	v_add_f32_e32 v23, v56, v58
	v_fmac_f32_e32 v21, 0x3f5db3d7, v22
	v_fmac_f32_e32 v11, 0xbf5db3d7, v22
	v_add_f32_e32 v22, v24, v56
	v_fma_f32 v24, -0.5, v23, v24
	v_sub_f32_e32 v23, v57, v29
	v_mov_b32_e32 v28, v24
	v_fmac_f32_e32 v28, 0xbf5db3d7, v23
	v_fmac_f32_e32 v24, 0x3f5db3d7, v23
	v_add_f32_e32 v23, v25, v57
	v_mul_f32_e32 v60, v83, v31
	v_add_f32_e32 v23, v23, v29
	v_add_f32_e32 v29, v57, v29
	v_fmac_f32_e32 v59, v80, v32
	v_fmac_f32_e32 v60, v82, v30
	v_fma_f32 v25, -0.5, v29, v25
	v_sub_f32_e32 v30, v56, v58
	v_mov_b32_e32 v29, v25
	v_add_f32_e32 v31, v59, v60
	v_fmac_f32_e32 v29, 0x3f5db3d7, v30
	v_fmac_f32_e32 v25, 0xbf5db3d7, v30
	v_add_f32_e32 v30, v26, v59
	v_fma_f32 v26, -0.5, v31, v26
	v_sub_f32_e32 v31, v33, v61
	v_mov_b32_e32 v32, v26
	v_mul_f32_e32 v62, v85, v35
	v_fmac_f32_e32 v32, 0xbf5db3d7, v31
	v_fmac_f32_e32 v26, 0x3f5db3d7, v31
	v_add_f32_e32 v31, v27, v33
	v_add_f32_e32 v33, v33, v61
	v_fmac_f32_e32 v62, v84, v34
	v_fmac_f32_e32 v64, v86, v40
	v_fmac_f32_e32 v27, -0.5, v33
	v_sub_f32_e32 v34, v59, v60
	v_mov_b32_e32 v33, v27
	v_add_f32_e32 v35, v62, v64
	v_fmac_f32_e32 v33, 0x3f5db3d7, v34
	v_fmac_f32_e32 v27, 0xbf5db3d7, v34
	v_add_f32_e32 v34, v36, v62
	v_fma_f32 v36, -0.5, v35, v36
	v_sub_f32_e32 v35, v63, v41
	v_mov_b32_e32 v40, v36
	v_fmac_f32_e32 v40, 0xbf5db3d7, v35
	v_fmac_f32_e32 v36, 0x3f5db3d7, v35
	v_add_f32_e32 v35, v37, v63
	v_mul_f32_e32 v66, v91, v43
	v_add_f32_e32 v35, v35, v41
	v_add_f32_e32 v41, v63, v41
	v_fmac_f32_e32 v65, v88, v44
	v_fmac_f32_e32 v66, v90, v42
	v_fma_f32 v37, -0.5, v41, v37
	v_sub_f32_e32 v42, v62, v64
	v_mov_b32_e32 v41, v37
	v_add_f32_e32 v43, v65, v66
	v_fmac_f32_e32 v41, 0x3f5db3d7, v42
	v_fmac_f32_e32 v37, 0xbf5db3d7, v42
	v_add_f32_e32 v42, v38, v65
	v_fma_f32 v38, -0.5, v43, v38
	v_sub_f32_e32 v43, v45, v67
	v_mov_b32_e32 v44, v38
	v_mul_f32_e32 v68, v93, v47
	v_fmac_f32_e32 v44, 0xbf5db3d7, v43
	v_fmac_f32_e32 v38, 0x3f5db3d7, v43
	v_add_f32_e32 v43, v39, v45
	v_add_f32_e32 v45, v45, v67
	v_fmac_f32_e32 v68, v92, v46
	v_fmac_f32_e32 v70, v94, v48
	v_fmac_f32_e32 v39, -0.5, v45
	v_sub_f32_e32 v46, v65, v66
	v_mov_b32_e32 v45, v39
	v_add_f32_e32 v47, v68, v70
	v_fmac_f32_e32 v45, 0x3f5db3d7, v46
	v_fmac_f32_e32 v39, 0xbf5db3d7, v46
	v_add_f32_e32 v46, v12, v68
	v_fma_f32 v12, -0.5, v47, v12
	v_sub_f32_e32 v47, v69, v49
	v_mov_b32_e32 v48, v12
	v_fmac_f32_e32 v48, 0xbf5db3d7, v47
	v_fmac_f32_e32 v12, 0x3f5db3d7, v47
	v_add_f32_e32 v47, v13, v69
	v_add_f32_e32 v47, v47, v49
	v_add_f32_e32 v49, v69, v49
	v_fmac_f32_e32 v13, -0.5, v49
	v_add_f32_e32 v14, v14, v52
	v_add_f32_e32 v18, v18, v54
	;; [unrolled: 1-line block ×3, first 2 shown]
	v_sub_f32_e32 v50, v68, v70
	v_mov_b32_e32 v49, v13
	ds_write_b64 v171, v[16:17] offset:5096
	ds_write_b64 v171, v[8:9] offset:10192
	ds_write2_b64 v171, v[14:15], v[18:19] offset1:91
	ds_write2_b64 v3, v[20:21], v[28:29] offset0:88 offset1:179
	v_add_u32_e32 v8, 0x2800, v171
	v_add_f32_e32 v22, v22, v58
	v_add_f32_e32 v30, v30, v60
	;; [unrolled: 1-line block ×7, first 2 shown]
	v_fmac_f32_e32 v49, 0x3f5db3d7, v50
	v_fmac_f32_e32 v13, 0xbf5db3d7, v50
	ds_write2_b64 v8, v[10:11], v[24:25] offset0:85 offset1:176
	ds_write2_b64 v97, v[22:23], v[30:31] offset0:54 offset1:145
	ds_write2_b64 v98, v[32:33], v[40:41] offset0:142 offset1:233
	ds_write2_b64 v2, v[26:27], v[36:37] offset0:11 offset1:102
	ds_write2_b64 v7, v[34:35], v[42:43] offset0:108 offset1:199
	ds_write_b64 v171, v[46:47] offset:4368
	ds_write2_b64 v96, v[44:45], v[48:49] offset0:68 offset1:159
	v_add_u32_e32 v8, 0x3400, v171
	ds_write2_b64 v8, v[38:39], v[12:13] offset0:65 offset1:156
	s_waitcnt lgkmcnt(0)
	s_barrier
	ds_read2_b64 v[8:11], v171 offset1:147
	s_mov_b32 s2, 0xa36ec936
	s_mov_b32 s3, 0x3f4125a4
	v_mad_u64_u32 v[14:15], s[4:5], s8, v172, 0
	s_waitcnt lgkmcnt(0)
	v_mul_f32_e32 v12, v165, v9
	v_fmac_f32_e32 v12, v164, v8
	v_mul_f32_e32 v8, v165, v8
	v_fma_f32 v8, v164, v9, -v8
	v_cvt_f64_f32_e32 v[12:13], v12
	v_cvt_f64_f32_e32 v[8:9], v8
	v_mad_u64_u32 v[15:16], s[4:5], s9, v172, v[15:16]
	v_mul_f64 v[12:13], v[12:13], s[2:3]
	v_mul_f64 v[8:9], v[8:9], s[2:3]
	v_lshlrev_b64 v[0:1], 3, v[0:1]
	v_mov_b32_e32 v16, s7
	v_add_co_u32_e32 v17, vcc, s6, v0
	v_addc_co_u32_e32 v18, vcc, v16, v1, vcc
	v_cvt_f32_f64_e32 v12, v[12:13]
	v_cvt_f32_f64_e32 v13, v[8:9]
	v_mul_f32_e32 v8, v163, v11
	v_fmac_f32_e32 v8, v162, v10
	v_cvt_f64_f32_e32 v[8:9], v8
	v_mul_f32_e32 v10, v163, v10
	v_fma_f32 v10, v162, v11, -v10
	v_cvt_f64_f32_e32 v[10:11], v10
	v_mul_f64 v[0:1], v[8:9], s[2:3]
	v_lshlrev_b64 v[8:9], 3, v[14:15]
	s_mul_i32 s4, s9, 0x93
	v_add_co_u32_e32 v16, vcc, v17, v8
	v_mul_f64 v[14:15], v[10:11], s[2:3]
	v_addc_co_u32_e32 v17, vcc, v18, v9, vcc
	ds_read2_b64 v[7:10], v7 offset0:38 offset1:185
	global_store_dwordx2 v[16:17], v[12:13], off
	s_mul_hi_u32 s5, s8, 0x93
	v_cvt_f32_f64_e32 v0, v[0:1]
	s_add_i32 s5, s5, s4
	s_waitcnt lgkmcnt(0)
	v_mul_f32_e32 v11, v159, v8
	v_fmac_f32_e32 v11, v158, v7
	v_mul_f32_e32 v7, v159, v7
	v_fma_f32 v7, v158, v8, -v7
	v_cvt_f64_f32_e32 v[7:8], v7
	v_cvt_f64_f32_e32 v[11:12], v11
	v_cvt_f32_f64_e32 v1, v[14:15]
	s_mul_i32 s4, s8, 0x93
	v_mul_f64 v[7:8], v[7:8], s[2:3]
	v_mul_f64 v[11:12], v[11:12], s[2:3]
	s_lshl_b64 s[4:5], s[4:5], 3
	v_mov_b32_e32 v19, s5
	v_add_co_u32_e32 v13, vcc, s4, v16
	v_addc_co_u32_e32 v14, vcc, v17, v19, vcc
	global_store_dwordx2 v[13:14], v[0:1], off
	v_cvt_f32_f64_e32 v1, v[7:8]
	v_mul_f32_e32 v7, v155, v10
	v_fmac_f32_e32 v7, v154, v9
	v_cvt_f32_f64_e32 v0, v[11:12]
	v_cvt_f64_f32_e32 v[11:12], v7
	v_mul_f32_e32 v7, v155, v9
	v_fma_f32 v7, v154, v10, -v7
	v_cvt_f64_f32_e32 v[15:16], v7
	ds_read2_b64 v[6:9], v6 offset0:76 offset1:223
	v_mul_f64 v[10:11], v[11:12], s[2:3]
	v_add_co_u32_e32 v13, vcc, s4, v13
	v_mul_f64 v[15:16], v[15:16], s[2:3]
	s_waitcnt lgkmcnt(0)
	v_mul_f32_e32 v12, v161, v7
	v_fmac_f32_e32 v12, v160, v6
	v_mul_f32_e32 v6, v161, v6
	v_fma_f32 v6, v160, v7, -v6
	v_cvt_f64_f32_e32 v[6:7], v6
	v_cvt_f64_f32_e32 v[17:18], v12
	v_addc_co_u32_e32 v14, vcc, v14, v19, vcc
	v_mul_f64 v[6:7], v[6:7], s[2:3]
	global_store_dwordx2 v[13:14], v[0:1], off
	v_cvt_f32_f64_e32 v0, v[10:11]
	v_mul_f64 v[10:11], v[17:18], s[2:3]
	v_cvt_f32_f64_e32 v1, v[15:16]
	v_add_co_u32_e32 v12, vcc, s4, v13
	v_addc_co_u32_e32 v13, vcc, v14, v19, vcc
	global_store_dwordx2 v[12:13], v[0:1], off
	v_cvt_f32_f64_e32 v1, v[6:7]
	v_mul_f32_e32 v6, v157, v9
	v_fmac_f32_e32 v6, v156, v8
	v_cvt_f32_f64_e32 v0, v[10:11]
	v_cvt_f64_f32_e32 v[10:11], v6
	v_mul_f32_e32 v6, v157, v8
	v_fma_f32 v6, v156, v9, -v6
	v_cvt_f64_f32_e32 v[14:15], v6
	v_add_u32_e32 v6, 0x1a00, v171
	ds_read2_b64 v[6:9], v6 offset0:50 offset1:197
	v_mul_f64 v[10:11], v[10:11], s[2:3]
	v_mul_f64 v[14:15], v[14:15], s[2:3]
	v_add_co_u32_e32 v12, vcc, s4, v12
	s_waitcnt lgkmcnt(0)
	v_mul_f32_e32 v16, v151, v7
	v_fmac_f32_e32 v16, v150, v6
	v_mul_f32_e32 v6, v151, v6
	v_fma_f32 v6, v150, v7, -v6
	v_cvt_f64_f32_e32 v[6:7], v6
	v_cvt_f64_f32_e32 v[16:17], v16
	v_addc_co_u32_e32 v13, vcc, v13, v19, vcc
	v_mul_f64 v[6:7], v[6:7], s[2:3]
	global_store_dwordx2 v[12:13], v[0:1], off
	v_cvt_f32_f64_e32 v0, v[10:11]
	v_mul_f64 v[10:11], v[16:17], s[2:3]
	v_cvt_f32_f64_e32 v1, v[14:15]
	v_add_co_u32_e32 v12, vcc, s4, v12
	v_addc_co_u32_e32 v13, vcc, v13, v19, vcc
	global_store_dwordx2 v[12:13], v[0:1], off
	v_cvt_f32_f64_e32 v1, v[6:7]
	v_mul_f32_e32 v6, v149, v9
	v_fmac_f32_e32 v6, v148, v8
	v_cvt_f32_f64_e32 v0, v[10:11]
	v_cvt_f64_f32_e32 v[10:11], v6
	v_mul_f32_e32 v6, v149, v8
	v_fma_f32 v6, v148, v9, -v6
	v_cvt_f64_f32_e32 v[14:15], v6
	ds_read2_b64 v[5:8], v5 offset0:24 offset1:171
	v_mul_f64 v[9:10], v[10:11], s[2:3]
	v_add_co_u32_e32 v12, vcc, s4, v12
	v_mul_f64 v[14:15], v[14:15], s[2:3]
	s_waitcnt lgkmcnt(0)
	v_mul_f32_e32 v11, v153, v6
	v_fmac_f32_e32 v11, v152, v5
	v_mul_f32_e32 v5, v153, v5
	v_fma_f32 v5, v152, v6, -v5
	v_cvt_f64_f32_e32 v[5:6], v5
	v_cvt_f64_f32_e32 v[16:17], v11
	v_addc_co_u32_e32 v13, vcc, v13, v19, vcc
	v_mul_f64 v[5:6], v[5:6], s[2:3]
	global_store_dwordx2 v[12:13], v[0:1], off
	v_cvt_f32_f64_e32 v0, v[9:10]
	v_mul_f64 v[9:10], v[16:17], s[2:3]
	v_cvt_f32_f64_e32 v1, v[14:15]
	v_add_co_u32_e32 v11, vcc, s4, v12
	v_addc_co_u32_e32 v12, vcc, v13, v19, vcc
	global_store_dwordx2 v[11:12], v[0:1], off
	v_cvt_f32_f64_e32 v1, v[5:6]
	v_mul_f32_e32 v5, v147, v8
	v_fmac_f32_e32 v5, v146, v7
	v_cvt_f32_f64_e32 v0, v[9:10]
	v_cvt_f64_f32_e32 v[9:10], v5
	v_mul_f32_e32 v5, v147, v7
	v_fma_f32 v5, v146, v8, -v5
	v_cvt_f64_f32_e32 v[13:14], v5
	ds_read2_b64 v[4:7], v4 offset0:62 offset1:209
	v_mul_f64 v[8:9], v[9:10], s[2:3]
	v_add_co_u32_e32 v11, vcc, s4, v11
	v_mul_f64 v[13:14], v[13:14], s[2:3]
	s_waitcnt lgkmcnt(0)
	v_mul_f32_e32 v10, v145, v5
	v_fmac_f32_e32 v10, v144, v4
	v_mul_f32_e32 v4, v145, v4
	v_fma_f32 v4, v144, v5, -v4
	v_cvt_f64_f32_e32 v[4:5], v4
	v_cvt_f64_f32_e32 v[15:16], v10
	v_addc_co_u32_e32 v12, vcc, v12, v19, vcc
	v_mul_f64 v[4:5], v[4:5], s[2:3]
	global_store_dwordx2 v[11:12], v[0:1], off
	v_cvt_f32_f64_e32 v0, v[8:9]
	v_mul_f64 v[8:9], v[15:16], s[2:3]
	v_cvt_f32_f64_e32 v1, v[13:14]
	v_add_co_u32_e32 v10, vcc, s4, v11
	v_addc_co_u32_e32 v11, vcc, v12, v19, vcc
	global_store_dwordx2 v[10:11], v[0:1], off
	v_cvt_f32_f64_e32 v1, v[4:5]
	v_mul_f32_e32 v4, v143, v7
	v_fmac_f32_e32 v4, v142, v6
	v_cvt_f32_f64_e32 v0, v[8:9]
	v_cvt_f64_f32_e32 v[4:5], v4
	ds_read_b64 v[8:9], v171 offset:14112
	v_mul_f32_e32 v6, v143, v6
	v_fma_f32 v6, v142, v7, -v6
	v_mul_f64 v[4:5], v[4:5], s[2:3]
	v_cvt_f64_f32_e32 v[6:7], v6
	s_waitcnt lgkmcnt(0)
	v_mul_f32_e32 v12, v141, v9
	v_fmac_f32_e32 v12, v140, v8
	v_mul_f32_e32 v8, v141, v8
	v_fma_f32 v8, v140, v9, -v8
	v_cvt_f64_f32_e32 v[12:13], v12
	v_cvt_f64_f32_e32 v[8:9], v8
	v_add_co_u32_e32 v10, vcc, s4, v10
	v_mul_f64 v[6:7], v[6:7], s[2:3]
	v_addc_co_u32_e32 v11, vcc, v11, v19, vcc
	global_store_dwordx2 v[10:11], v[0:1], off
	v_cvt_f32_f64_e32 v0, v[4:5]
	v_mul_f64 v[4:5], v[12:13], s[2:3]
	v_mul_f64 v[8:9], v[8:9], s[2:3]
	s_movk_i32 s12, 0x1000
	v_cvt_f32_f64_e32 v1, v[6:7]
	v_add_co_u32_e32 v6, vcc, s4, v10
	v_addc_co_u32_e32 v7, vcc, v11, v19, vcc
	v_cvt_f32_f64_e32 v4, v[4:5]
	v_cvt_f32_f64_e32 v5, v[8:9]
	global_store_dwordx2 v[6:7], v[0:1], off
	v_add_co_u32_e32 v0, vcc, s4, v6
	s_movk_i32 s11, 0x2000
	s_movk_i32 s10, 0x3000
	v_addc_co_u32_e32 v1, vcc, v7, v19, vcc
	global_store_dwordx2 v[0:1], v[4:5], off
	s_and_b64 exec, exec, s[0:1]
	s_cbranch_execz .LBB0_15
; %bb.14:
	global_load_dwordx2 v[8:9], v[138:139], off offset:728
	ds_read2_b64 v[4:7], v171 offset0:91 offset1:238
	v_mov_b32_e32 v12, s5
	s_waitcnt vmcnt(0) lgkmcnt(0)
	v_mul_f32_e32 v10, v5, v9
	v_mul_f32_e32 v9, v4, v9
	v_fmac_f32_e32 v10, v4, v8
	v_fma_f32 v8, v8, v5, -v9
	v_cvt_f64_f32_e32 v[4:5], v10
	v_cvt_f64_f32_e32 v[8:9], v8
	v_mov_b32_e32 v10, 0xffffcbb8
	v_mad_u64_u32 v[0:1], s[0:1], s8, v10, v[0:1]
	v_mul_f64 v[4:5], v[4:5], s[2:3]
	v_mul_f64 v[8:9], v[8:9], s[2:3]
	s_mul_i32 s0, s9, 0xffffcbb8
	s_sub_i32 s0, s0, s8
	v_add_u32_e32 v1, s0, v1
	v_cvt_f32_f64_e32 v4, v[4:5]
	v_cvt_f32_f64_e32 v5, v[8:9]
	global_store_dwordx2 v[0:1], v[4:5], off
	global_load_dwordx2 v[4:5], v[138:139], off offset:1904
	v_add_co_u32_e32 v0, vcc, s4, v0
	v_addc_co_u32_e32 v1, vcc, v1, v12, vcc
	s_waitcnt vmcnt(0)
	v_mul_f32_e32 v8, v7, v5
	v_mul_f32_e32 v5, v6, v5
	v_fmac_f32_e32 v8, v6, v4
	v_fma_f32 v6, v4, v7, -v5
	v_cvt_f64_f32_e32 v[4:5], v8
	v_cvt_f64_f32_e32 v[6:7], v6
	v_mul_f64 v[4:5], v[4:5], s[2:3]
	v_mul_f64 v[6:7], v[6:7], s[2:3]
	v_cvt_f32_f64_e32 v4, v[4:5]
	v_cvt_f32_f64_e32 v5, v[6:7]
	global_store_dwordx2 v[0:1], v[4:5], off
	global_load_dwordx2 v[8:9], v[138:139], off offset:3080
	v_add_u32_e32 v4, 0xc00, v171
	ds_read2_b64 v[4:7], v4 offset0:1 offset1:148
	s_waitcnt vmcnt(0) lgkmcnt(0)
	v_mul_f32_e32 v10, v5, v9
	v_mul_f32_e32 v9, v4, v9
	v_fmac_f32_e32 v10, v4, v8
	v_fma_f32 v8, v8, v5, -v9
	v_cvt_f64_f32_e32 v[4:5], v10
	v_cvt_f64_f32_e32 v[8:9], v8
	v_add_co_u32_e32 v10, vcc, s12, v138
	v_mul_f64 v[4:5], v[4:5], s[2:3]
	v_mul_f64 v[8:9], v[8:9], s[2:3]
	v_addc_co_u32_e32 v11, vcc, 0, v139, vcc
	v_add_co_u32_e32 v0, vcc, s4, v0
	v_addc_co_u32_e32 v1, vcc, v1, v12, vcc
	v_cvt_f32_f64_e32 v4, v[4:5]
	v_cvt_f32_f64_e32 v5, v[8:9]
	global_store_dwordx2 v[0:1], v[4:5], off
	global_load_dwordx2 v[4:5], v[10:11], off offset:160
	v_add_co_u32_e32 v0, vcc, s4, v0
	v_addc_co_u32_e32 v1, vcc, v1, v12, vcc
	s_waitcnt vmcnt(0)
	v_mul_f32_e32 v8, v7, v5
	v_mul_f32_e32 v5, v6, v5
	v_fmac_f32_e32 v8, v6, v4
	v_fma_f32 v6, v4, v7, -v5
	v_cvt_f64_f32_e32 v[4:5], v8
	v_cvt_f64_f32_e32 v[6:7], v6
	v_mul_f64 v[4:5], v[4:5], s[2:3]
	v_mul_f64 v[6:7], v[6:7], s[2:3]
	v_cvt_f32_f64_e32 v4, v[4:5]
	v_cvt_f32_f64_e32 v5, v[6:7]
	global_store_dwordx2 v[0:1], v[4:5], off
	global_load_dwordx2 v[7:8], v[10:11], off offset:1336
	ds_read2_b64 v[3:6], v3 offset0:39 offset1:186
	v_add_co_u32_e32 v0, vcc, s4, v0
	v_addc_co_u32_e32 v1, vcc, v1, v12, vcc
	s_waitcnt vmcnt(0) lgkmcnt(0)
	v_mul_f32_e32 v9, v4, v8
	v_mul_f32_e32 v8, v3, v8
	v_fmac_f32_e32 v9, v3, v7
	v_fma_f32 v7, v7, v4, -v8
	v_cvt_f64_f32_e32 v[3:4], v9
	v_cvt_f64_f32_e32 v[7:8], v7
	v_mul_f64 v[3:4], v[3:4], s[2:3]
	v_mul_f64 v[7:8], v[7:8], s[2:3]
	v_cvt_f32_f64_e32 v3, v[3:4]
	v_cvt_f32_f64_e32 v4, v[7:8]
	global_store_dwordx2 v[0:1], v[3:4], off
	global_load_dwordx2 v[3:4], v[10:11], off offset:2512
	v_add_co_u32_e32 v0, vcc, s4, v0
	v_addc_co_u32_e32 v1, vcc, v1, v12, vcc
	s_waitcnt vmcnt(0)
	v_mul_f32_e32 v7, v6, v4
	v_mul_f32_e32 v4, v5, v4
	v_fmac_f32_e32 v7, v5, v3
	v_fma_f32 v5, v3, v6, -v4
	v_cvt_f64_f32_e32 v[3:4], v7
	v_cvt_f64_f32_e32 v[5:6], v5
	v_mul_f64 v[3:4], v[3:4], s[2:3]
	v_mul_f64 v[5:6], v[5:6], s[2:3]
	v_cvt_f32_f64_e32 v3, v[3:4]
	v_cvt_f32_f64_e32 v4, v[5:6]
	global_store_dwordx2 v[0:1], v[3:4], off
	global_load_dwordx2 v[7:8], v[10:11], off offset:3688
	v_add_u32_e32 v3, 0x1c00, v171
	ds_read2_b64 v[3:6], v3 offset0:77 offset1:224
	s_waitcnt vmcnt(0) lgkmcnt(0)
	v_mul_f32_e32 v9, v4, v8
	v_mul_f32_e32 v8, v3, v8
	v_fmac_f32_e32 v9, v3, v7
	v_fma_f32 v7, v7, v4, -v8
	v_cvt_f64_f32_e32 v[3:4], v9
	v_cvt_f64_f32_e32 v[7:8], v7
	v_add_co_u32_e32 v9, vcc, s11, v138
	v_mul_f64 v[3:4], v[3:4], s[2:3]
	v_mul_f64 v[7:8], v[7:8], s[2:3]
	v_addc_co_u32_e32 v10, vcc, 0, v139, vcc
	v_add_co_u32_e32 v0, vcc, s4, v0
	v_addc_co_u32_e32 v1, vcc, v1, v12, vcc
	v_cvt_f32_f64_e32 v3, v[3:4]
	v_cvt_f32_f64_e32 v4, v[7:8]
	global_store_dwordx2 v[0:1], v[3:4], off
	global_load_dwordx2 v[3:4], v[9:10], off offset:768
	v_add_co_u32_e32 v0, vcc, s4, v0
	v_addc_co_u32_e32 v1, vcc, v1, v12, vcc
	s_waitcnt vmcnt(0)
	v_mul_f32_e32 v7, v6, v4
	v_mul_f32_e32 v4, v5, v4
	v_fmac_f32_e32 v7, v5, v3
	v_fma_f32 v5, v3, v6, -v4
	v_cvt_f64_f32_e32 v[3:4], v7
	v_cvt_f64_f32_e32 v[5:6], v5
	v_mul_f64 v[3:4], v[3:4], s[2:3]
	v_mul_f64 v[5:6], v[5:6], s[2:3]
	v_cvt_f32_f64_e32 v3, v[3:4]
	v_cvt_f32_f64_e32 v4, v[5:6]
	global_store_dwordx2 v[0:1], v[3:4], off
	global_load_dwordx2 v[7:8], v[9:10], off offset:1944
	v_add_u32_e32 v3, 0x2600, v171
	ds_read2_b64 v[3:6], v3 offset0:51 offset1:198
	v_add_co_u32_e32 v0, vcc, s4, v0
	v_addc_co_u32_e32 v1, vcc, v1, v12, vcc
	s_waitcnt vmcnt(0) lgkmcnt(0)
	v_mul_f32_e32 v11, v4, v8
	v_mul_f32_e32 v8, v3, v8
	v_fmac_f32_e32 v11, v3, v7
	v_fma_f32 v7, v7, v4, -v8
	v_cvt_f64_f32_e32 v[3:4], v11
	v_cvt_f64_f32_e32 v[7:8], v7
	v_mul_f64 v[3:4], v[3:4], s[2:3]
	v_mul_f64 v[7:8], v[7:8], s[2:3]
	v_cvt_f32_f64_e32 v3, v[3:4]
	v_cvt_f32_f64_e32 v4, v[7:8]
	global_store_dwordx2 v[0:1], v[3:4], off
	global_load_dwordx2 v[3:4], v[9:10], off offset:3120
	s_waitcnt vmcnt(0)
	v_mul_f32_e32 v7, v6, v4
	v_mul_f32_e32 v4, v5, v4
	v_fmac_f32_e32 v7, v5, v3
	v_fma_f32 v5, v3, v6, -v4
	v_cvt_f64_f32_e32 v[3:4], v7
	v_cvt_f64_f32_e32 v[5:6], v5
	v_add_co_u32_e32 v7, vcc, s10, v138
	v_mul_f64 v[3:4], v[3:4], s[2:3]
	v_mul_f64 v[5:6], v[5:6], s[2:3]
	v_addc_co_u32_e32 v8, vcc, 0, v139, vcc
	v_cvt_f32_f64_e32 v3, v[3:4]
	v_cvt_f32_f64_e32 v4, v[5:6]
	v_add_co_u32_e32 v5, vcc, s4, v0
	v_addc_co_u32_e32 v6, vcc, v1, v12, vcc
	global_store_dwordx2 v[5:6], v[3:4], off
	global_load_dwordx2 v[9:10], v[7:8], off offset:200
	ds_read2_b64 v[0:3], v2 offset0:25 offset1:172
	s_waitcnt vmcnt(0) lgkmcnt(0)
	v_mul_f32_e32 v4, v1, v10
	v_mul_f32_e32 v10, v0, v10
	v_fmac_f32_e32 v4, v0, v9
	v_fma_f32 v9, v9, v1, -v10
	v_cvt_f64_f32_e32 v[0:1], v4
	v_cvt_f64_f32_e32 v[9:10], v9
	v_add_co_u32_e32 v4, vcc, s4, v5
	v_mul_f64 v[0:1], v[0:1], s[2:3]
	v_mul_f64 v[9:10], v[9:10], s[2:3]
	v_addc_co_u32_e32 v5, vcc, v6, v12, vcc
	v_cvt_f32_f64_e32 v0, v[0:1]
	v_cvt_f32_f64_e32 v1, v[9:10]
	global_store_dwordx2 v[4:5], v[0:1], off
	global_load_dwordx2 v[0:1], v[7:8], off offset:1376
	s_waitcnt vmcnt(0)
	v_mul_f32_e32 v6, v3, v1
	v_mul_f32_e32 v1, v2, v1
	v_fmac_f32_e32 v6, v2, v0
	v_fma_f32 v2, v0, v3, -v1
	v_cvt_f64_f32_e32 v[0:1], v6
	v_cvt_f64_f32_e32 v[2:3], v2
	v_mul_f64 v[0:1], v[0:1], s[2:3]
	v_mul_f64 v[2:3], v[2:3], s[2:3]
	v_cvt_f32_f64_e32 v0, v[0:1]
	v_cvt_f32_f64_e32 v1, v[2:3]
	v_add_co_u32_e32 v2, vcc, s4, v4
	v_addc_co_u32_e32 v3, vcc, v5, v12, vcc
	global_store_dwordx2 v[2:3], v[0:1], off
	global_load_dwordx2 v[0:1], v[7:8], off offset:2552
	ds_read_b64 v[4:5], v171 offset:14840
	v_add_co_u32_e32 v2, vcc, s4, v2
	v_addc_co_u32_e32 v3, vcc, v3, v12, vcc
	s_waitcnt vmcnt(0) lgkmcnt(0)
	v_mul_f32_e32 v6, v5, v1
	v_mul_f32_e32 v1, v4, v1
	v_fmac_f32_e32 v6, v4, v0
	v_fma_f32 v4, v0, v5, -v1
	v_cvt_f64_f32_e32 v[0:1], v6
	v_cvt_f64_f32_e32 v[4:5], v4
	v_mul_f64 v[0:1], v[0:1], s[2:3]
	v_mul_f64 v[4:5], v[4:5], s[2:3]
	v_cvt_f32_f64_e32 v0, v[0:1]
	v_cvt_f32_f64_e32 v1, v[4:5]
	global_store_dwordx2 v[2:3], v[0:1], off
.LBB0_15:
	s_endpgm
	.section	.rodata,"a",@progbits
	.p2align	6, 0x0
	.amdhsa_kernel bluestein_single_fwd_len1911_dim1_sp_op_CI_CI
		.amdhsa_group_segment_fixed_size 15288
		.amdhsa_private_segment_fixed_size 0
		.amdhsa_kernarg_size 104
		.amdhsa_user_sgpr_count 6
		.amdhsa_user_sgpr_private_segment_buffer 1
		.amdhsa_user_sgpr_dispatch_ptr 0
		.amdhsa_user_sgpr_queue_ptr 0
		.amdhsa_user_sgpr_kernarg_segment_ptr 1
		.amdhsa_user_sgpr_dispatch_id 0
		.amdhsa_user_sgpr_flat_scratch_init 0
		.amdhsa_user_sgpr_private_segment_size 0
		.amdhsa_uses_dynamic_stack 0
		.amdhsa_system_sgpr_private_segment_wavefront_offset 0
		.amdhsa_system_sgpr_workgroup_id_x 1
		.amdhsa_system_sgpr_workgroup_id_y 0
		.amdhsa_system_sgpr_workgroup_id_z 0
		.amdhsa_system_sgpr_workgroup_info 0
		.amdhsa_system_vgpr_workitem_id 0
		.amdhsa_next_free_vgpr 247
		.amdhsa_next_free_sgpr 20
		.amdhsa_reserve_vcc 1
		.amdhsa_reserve_flat_scratch 0
		.amdhsa_float_round_mode_32 0
		.amdhsa_float_round_mode_16_64 0
		.amdhsa_float_denorm_mode_32 3
		.amdhsa_float_denorm_mode_16_64 3
		.amdhsa_dx10_clamp 1
		.amdhsa_ieee_mode 1
		.amdhsa_fp16_overflow 0
		.amdhsa_exception_fp_ieee_invalid_op 0
		.amdhsa_exception_fp_denorm_src 0
		.amdhsa_exception_fp_ieee_div_zero 0
		.amdhsa_exception_fp_ieee_overflow 0
		.amdhsa_exception_fp_ieee_underflow 0
		.amdhsa_exception_fp_ieee_inexact 0
		.amdhsa_exception_int_div_zero 0
	.end_amdhsa_kernel
	.text
.Lfunc_end0:
	.size	bluestein_single_fwd_len1911_dim1_sp_op_CI_CI, .Lfunc_end0-bluestein_single_fwd_len1911_dim1_sp_op_CI_CI
                                        ; -- End function
	.section	.AMDGPU.csdata,"",@progbits
; Kernel info:
; codeLenInByte = 28144
; NumSgprs: 24
; NumVgprs: 247
; ScratchSize: 0
; MemoryBound: 0
; FloatMode: 240
; IeeeMode: 1
; LDSByteSize: 15288 bytes/workgroup (compile time only)
; SGPRBlocks: 2
; VGPRBlocks: 61
; NumSGPRsForWavesPerEU: 24
; NumVGPRsForWavesPerEU: 247
; Occupancy: 1
; WaveLimiterHint : 1
; COMPUTE_PGM_RSRC2:SCRATCH_EN: 0
; COMPUTE_PGM_RSRC2:USER_SGPR: 6
; COMPUTE_PGM_RSRC2:TRAP_HANDLER: 0
; COMPUTE_PGM_RSRC2:TGID_X_EN: 1
; COMPUTE_PGM_RSRC2:TGID_Y_EN: 0
; COMPUTE_PGM_RSRC2:TGID_Z_EN: 0
; COMPUTE_PGM_RSRC2:TIDIG_COMP_CNT: 0
	.type	__hip_cuid_4f391f1a3400bce4,@object ; @__hip_cuid_4f391f1a3400bce4
	.section	.bss,"aw",@nobits
	.globl	__hip_cuid_4f391f1a3400bce4
__hip_cuid_4f391f1a3400bce4:
	.byte	0                               ; 0x0
	.size	__hip_cuid_4f391f1a3400bce4, 1

	.ident	"AMD clang version 19.0.0git (https://github.com/RadeonOpenCompute/llvm-project roc-6.4.0 25133 c7fe45cf4b819c5991fe208aaa96edf142730f1d)"
	.section	".note.GNU-stack","",@progbits
	.addrsig
	.addrsig_sym __hip_cuid_4f391f1a3400bce4
	.amdgpu_metadata
---
amdhsa.kernels:
  - .args:
      - .actual_access:  read_only
        .address_space:  global
        .offset:         0
        .size:           8
        .value_kind:     global_buffer
      - .actual_access:  read_only
        .address_space:  global
        .offset:         8
        .size:           8
        .value_kind:     global_buffer
      - .actual_access:  read_only
        .address_space:  global
        .offset:         16
        .size:           8
        .value_kind:     global_buffer
      - .actual_access:  read_only
        .address_space:  global
        .offset:         24
        .size:           8
        .value_kind:     global_buffer
      - .actual_access:  read_only
        .address_space:  global
        .offset:         32
        .size:           8
        .value_kind:     global_buffer
      - .offset:         40
        .size:           8
        .value_kind:     by_value
      - .address_space:  global
        .offset:         48
        .size:           8
        .value_kind:     global_buffer
      - .address_space:  global
        .offset:         56
        .size:           8
        .value_kind:     global_buffer
      - .address_space:  global
        .offset:         64
        .size:           8
        .value_kind:     global_buffer
      - .address_space:  global
        .offset:         72
        .size:           8
        .value_kind:     global_buffer
      - .offset:         80
        .size:           4
        .value_kind:     by_value
      - .address_space:  global
        .offset:         88
        .size:           8
        .value_kind:     global_buffer
      - .address_space:  global
        .offset:         96
        .size:           8
        .value_kind:     global_buffer
    .group_segment_fixed_size: 15288
    .kernarg_segment_align: 8
    .kernarg_segment_size: 104
    .language:       OpenCL C
    .language_version:
      - 2
      - 0
    .max_flat_workgroup_size: 91
    .name:           bluestein_single_fwd_len1911_dim1_sp_op_CI_CI
    .private_segment_fixed_size: 0
    .sgpr_count:     24
    .sgpr_spill_count: 0
    .symbol:         bluestein_single_fwd_len1911_dim1_sp_op_CI_CI.kd
    .uniform_work_group_size: 1
    .uses_dynamic_stack: false
    .vgpr_count:     247
    .vgpr_spill_count: 0
    .wavefront_size: 64
amdhsa.target:   amdgcn-amd-amdhsa--gfx906
amdhsa.version:
  - 1
  - 2
...

	.end_amdgpu_metadata
